;; amdgpu-corpus repo=ROCm/rocFFT kind=compiled arch=gfx1030 opt=O3
	.text
	.amdgcn_target "amdgcn-amd-amdhsa--gfx1030"
	.amdhsa_code_object_version 6
	.protected	fft_rtc_fwd_len1512_factors_2_2_2_3_3_3_7_wgs_63_tpt_63_halfLds_half_ip_CI_unitstride_sbrr_dirReg ; -- Begin function fft_rtc_fwd_len1512_factors_2_2_2_3_3_3_7_wgs_63_tpt_63_halfLds_half_ip_CI_unitstride_sbrr_dirReg
	.globl	fft_rtc_fwd_len1512_factors_2_2_2_3_3_3_7_wgs_63_tpt_63_halfLds_half_ip_CI_unitstride_sbrr_dirReg
	.p2align	8
	.type	fft_rtc_fwd_len1512_factors_2_2_2_3_3_3_7_wgs_63_tpt_63_halfLds_half_ip_CI_unitstride_sbrr_dirReg,@function
fft_rtc_fwd_len1512_factors_2_2_2_3_3_3_7_wgs_63_tpt_63_halfLds_half_ip_CI_unitstride_sbrr_dirReg: ; @fft_rtc_fwd_len1512_factors_2_2_2_3_3_3_7_wgs_63_tpt_63_halfLds_half_ip_CI_unitstride_sbrr_dirReg
; %bb.0:
	s_clause 0x2
	s_load_dwordx4 s[8:11], s[4:5], 0x0
	s_load_dwordx2 s[2:3], s[4:5], 0x50
	s_load_dwordx2 s[12:13], s[4:5], 0x18
	v_mul_u32_u24_e32 v1, 0x411, v0
	v_mov_b32_e32 v4, 0
	v_mov_b32_e32 v2, 0
	;; [unrolled: 1-line block ×3, first 2 shown]
	v_add_nc_u32_sdwa v6, s6, v1 dst_sel:DWORD dst_unused:UNUSED_PAD src0_sel:DWORD src1_sel:WORD_1
	v_mov_b32_e32 v7, v4
	s_waitcnt lgkmcnt(0)
	v_cmp_lt_u64_e64 s0, s[10:11], 2
	s_and_b32 vcc_lo, exec_lo, s0
	s_cbranch_vccnz .LBB0_8
; %bb.1:
	s_load_dwordx2 s[0:1], s[4:5], 0x10
	v_mov_b32_e32 v2, 0
	s_add_u32 s6, s12, 8
	v_mov_b32_e32 v3, 0
	s_addc_u32 s7, s13, 0
	s_mov_b64 s[16:17], 1
	s_waitcnt lgkmcnt(0)
	s_add_u32 s14, s0, 8
	s_addc_u32 s15, s1, 0
.LBB0_2:                                ; =>This Inner Loop Header: Depth=1
	s_load_dwordx2 s[18:19], s[14:15], 0x0
                                        ; implicit-def: $vgpr8_vgpr9
	s_mov_b32 s0, exec_lo
	s_waitcnt lgkmcnt(0)
	v_or_b32_e32 v5, s19, v7
	v_cmpx_ne_u64_e32 0, v[4:5]
	s_xor_b32 s1, exec_lo, s0
	s_cbranch_execz .LBB0_4
; %bb.3:                                ;   in Loop: Header=BB0_2 Depth=1
	v_cvt_f32_u32_e32 v1, s18
	v_cvt_f32_u32_e32 v5, s19
	s_sub_u32 s0, 0, s18
	s_subb_u32 s20, 0, s19
	v_fmac_f32_e32 v1, 0x4f800000, v5
	v_rcp_f32_e32 v1, v1
	v_mul_f32_e32 v1, 0x5f7ffffc, v1
	v_mul_f32_e32 v5, 0x2f800000, v1
	v_trunc_f32_e32 v5, v5
	v_fmac_f32_e32 v1, 0xcf800000, v5
	v_cvt_u32_f32_e32 v5, v5
	v_cvt_u32_f32_e32 v1, v1
	v_mul_lo_u32 v8, s0, v5
	v_mul_hi_u32 v9, s0, v1
	v_mul_lo_u32 v10, s20, v1
	v_add_nc_u32_e32 v8, v9, v8
	v_mul_lo_u32 v9, s0, v1
	v_add_nc_u32_e32 v8, v8, v10
	v_mul_hi_u32 v10, v1, v9
	v_mul_lo_u32 v11, v1, v8
	v_mul_hi_u32 v12, v1, v8
	v_mul_hi_u32 v13, v5, v9
	v_mul_lo_u32 v9, v5, v9
	v_mul_hi_u32 v14, v5, v8
	v_mul_lo_u32 v8, v5, v8
	v_add_co_u32 v10, vcc_lo, v10, v11
	v_add_co_ci_u32_e32 v11, vcc_lo, 0, v12, vcc_lo
	v_add_co_u32 v9, vcc_lo, v10, v9
	v_add_co_ci_u32_e32 v9, vcc_lo, v11, v13, vcc_lo
	v_add_co_ci_u32_e32 v10, vcc_lo, 0, v14, vcc_lo
	v_add_co_u32 v8, vcc_lo, v9, v8
	v_add_co_ci_u32_e32 v9, vcc_lo, 0, v10, vcc_lo
	v_add_co_u32 v1, vcc_lo, v1, v8
	v_add_co_ci_u32_e32 v5, vcc_lo, v5, v9, vcc_lo
	v_mul_hi_u32 v8, s0, v1
	v_mul_lo_u32 v10, s20, v1
	v_mul_lo_u32 v9, s0, v5
	v_add_nc_u32_e32 v8, v8, v9
	v_mul_lo_u32 v9, s0, v1
	v_add_nc_u32_e32 v8, v8, v10
	v_mul_hi_u32 v10, v1, v9
	v_mul_lo_u32 v11, v1, v8
	v_mul_hi_u32 v12, v1, v8
	v_mul_hi_u32 v13, v5, v9
	v_mul_lo_u32 v9, v5, v9
	v_mul_hi_u32 v14, v5, v8
	v_mul_lo_u32 v8, v5, v8
	v_add_co_u32 v10, vcc_lo, v10, v11
	v_add_co_ci_u32_e32 v11, vcc_lo, 0, v12, vcc_lo
	v_add_co_u32 v9, vcc_lo, v10, v9
	v_add_co_ci_u32_e32 v9, vcc_lo, v11, v13, vcc_lo
	v_add_co_ci_u32_e32 v10, vcc_lo, 0, v14, vcc_lo
	v_add_co_u32 v8, vcc_lo, v9, v8
	v_add_co_ci_u32_e32 v9, vcc_lo, 0, v10, vcc_lo
	v_add_co_u32 v1, vcc_lo, v1, v8
	v_add_co_ci_u32_e32 v5, vcc_lo, v5, v9, vcc_lo
	v_mul_hi_u32 v14, v6, v1
	v_mad_u64_u32 v[10:11], null, v7, v1, 0
	v_mad_u64_u32 v[8:9], null, v6, v5, 0
	;; [unrolled: 1-line block ×3, first 2 shown]
	v_add_co_u32 v1, vcc_lo, v14, v8
	v_add_co_ci_u32_e32 v5, vcc_lo, 0, v9, vcc_lo
	v_add_co_u32 v1, vcc_lo, v1, v10
	v_add_co_ci_u32_e32 v1, vcc_lo, v5, v11, vcc_lo
	v_add_co_ci_u32_e32 v5, vcc_lo, 0, v13, vcc_lo
	v_add_co_u32 v1, vcc_lo, v1, v12
	v_add_co_ci_u32_e32 v5, vcc_lo, 0, v5, vcc_lo
	v_mul_lo_u32 v10, s19, v1
	v_mad_u64_u32 v[8:9], null, s18, v1, 0
	v_mul_lo_u32 v11, s18, v5
	v_sub_co_u32 v8, vcc_lo, v6, v8
	v_add3_u32 v9, v9, v11, v10
	v_sub_nc_u32_e32 v10, v7, v9
	v_subrev_co_ci_u32_e64 v10, s0, s19, v10, vcc_lo
	v_add_co_u32 v11, s0, v1, 2
	v_add_co_ci_u32_e64 v12, s0, 0, v5, s0
	v_sub_co_u32 v13, s0, v8, s18
	v_sub_co_ci_u32_e32 v9, vcc_lo, v7, v9, vcc_lo
	v_subrev_co_ci_u32_e64 v10, s0, 0, v10, s0
	v_cmp_le_u32_e32 vcc_lo, s18, v13
	v_cmp_eq_u32_e64 s0, s19, v9
	v_cndmask_b32_e64 v13, 0, -1, vcc_lo
	v_cmp_le_u32_e32 vcc_lo, s19, v10
	v_cndmask_b32_e64 v14, 0, -1, vcc_lo
	v_cmp_le_u32_e32 vcc_lo, s18, v8
	;; [unrolled: 2-line block ×3, first 2 shown]
	v_cndmask_b32_e64 v15, 0, -1, vcc_lo
	v_cmp_eq_u32_e32 vcc_lo, s19, v10
	v_cndmask_b32_e64 v8, v15, v8, s0
	v_cndmask_b32_e32 v10, v14, v13, vcc_lo
	v_add_co_u32 v13, vcc_lo, v1, 1
	v_add_co_ci_u32_e32 v14, vcc_lo, 0, v5, vcc_lo
	v_cmp_ne_u32_e32 vcc_lo, 0, v10
	v_cndmask_b32_e32 v9, v14, v12, vcc_lo
	v_cndmask_b32_e32 v10, v13, v11, vcc_lo
	v_cmp_ne_u32_e32 vcc_lo, 0, v8
	v_cndmask_b32_e32 v9, v5, v9, vcc_lo
	v_cndmask_b32_e32 v8, v1, v10, vcc_lo
.LBB0_4:                                ;   in Loop: Header=BB0_2 Depth=1
	s_andn2_saveexec_b32 s0, s1
	s_cbranch_execz .LBB0_6
; %bb.5:                                ;   in Loop: Header=BB0_2 Depth=1
	v_cvt_f32_u32_e32 v1, s18
	s_sub_i32 s1, 0, s18
	v_rcp_iflag_f32_e32 v1, v1
	v_mul_f32_e32 v1, 0x4f7ffffe, v1
	v_cvt_u32_f32_e32 v1, v1
	v_mul_lo_u32 v5, s1, v1
	v_mul_hi_u32 v5, v1, v5
	v_add_nc_u32_e32 v1, v1, v5
	v_mul_hi_u32 v1, v6, v1
	v_mul_lo_u32 v5, v1, s18
	v_add_nc_u32_e32 v8, 1, v1
	v_sub_nc_u32_e32 v5, v6, v5
	v_subrev_nc_u32_e32 v9, s18, v5
	v_cmp_le_u32_e32 vcc_lo, s18, v5
	v_cndmask_b32_e32 v5, v5, v9, vcc_lo
	v_cndmask_b32_e32 v1, v1, v8, vcc_lo
	v_mov_b32_e32 v9, v4
	v_cmp_le_u32_e32 vcc_lo, s18, v5
	v_add_nc_u32_e32 v8, 1, v1
	v_cndmask_b32_e32 v8, v1, v8, vcc_lo
.LBB0_6:                                ;   in Loop: Header=BB0_2 Depth=1
	s_or_b32 exec_lo, exec_lo, s0
	s_load_dwordx2 s[0:1], s[6:7], 0x0
	v_mul_lo_u32 v1, v9, s18
	v_mul_lo_u32 v5, v8, s19
	v_mad_u64_u32 v[10:11], null, v8, s18, 0
	s_add_u32 s16, s16, 1
	s_addc_u32 s17, s17, 0
	s_add_u32 s6, s6, 8
	s_addc_u32 s7, s7, 0
	;; [unrolled: 2-line block ×3, first 2 shown]
	v_add3_u32 v1, v11, v5, v1
	v_sub_co_u32 v5, vcc_lo, v6, v10
	v_sub_co_ci_u32_e32 v1, vcc_lo, v7, v1, vcc_lo
	s_waitcnt lgkmcnt(0)
	v_mul_lo_u32 v6, s1, v5
	v_mul_lo_u32 v1, s0, v1
	v_mad_u64_u32 v[2:3], null, s0, v5, v[2:3]
	v_cmp_ge_u64_e64 s0, s[16:17], s[10:11]
	s_and_b32 vcc_lo, exec_lo, s0
	v_add3_u32 v3, v6, v3, v1
	s_cbranch_vccnz .LBB0_9
; %bb.7:                                ;   in Loop: Header=BB0_2 Depth=1
	v_mov_b32_e32 v6, v8
	v_mov_b32_e32 v7, v9
	s_branch .LBB0_2
.LBB0_8:
	v_mov_b32_e32 v9, v7
	v_mov_b32_e32 v8, v6
.LBB0_9:
	s_lshl_b64 s[0:1], s[10:11], 3
	v_mul_hi_u32 v5, 0x4104105, v0
	s_add_u32 s0, s12, s0
	s_addc_u32 s1, s13, s1
	v_mov_b32_e32 v1, 0
	s_load_dwordx2 s[0:1], s[0:1], 0x0
	s_load_dwordx2 s[4:5], s[4:5], 0x20
	v_mov_b32_e32 v4, 0
	v_mov_b32_e32 v29, 0
	;; [unrolled: 1-line block ×3, first 2 shown]
	v_mul_u32_u24_e32 v12, 63, v5
	v_mov_b32_e32 v18, 0
	v_mov_b32_e32 v17, 0
	;; [unrolled: 1-line block ×6, first 2 shown]
	v_sub_nc_u32_e32 v12, v0, v12
                                        ; implicit-def: $vgpr28
                                        ; implicit-def: $vgpr27
                                        ; implicit-def: $vgpr37
                                        ; implicit-def: $vgpr26
                                        ; implicit-def: $vgpr49
                                        ; implicit-def: $vgpr24
                                        ; implicit-def: $vgpr48
                                        ; implicit-def: $vgpr22
                                        ; implicit-def: $vgpr44
                                        ; implicit-def: $vgpr13
                                        ; implicit-def: $vgpr46
                                        ; implicit-def: $vgpr20
                                        ; implicit-def: $vgpr47
                                        ; implicit-def: $vgpr42
                                        ; implicit-def: $vgpr0
                                        ; implicit-def: $vgpr19
                                        ; implicit-def: $vgpr21
                                        ; implicit-def: $vgpr41
                                        ; implicit-def: $vgpr23
                                        ; implicit-def: $vgpr43
                                        ; implicit-def: $vgpr25
	s_waitcnt lgkmcnt(0)
	v_mul_lo_u32 v6, s0, v9
	v_mul_lo_u32 v7, s1, v8
	v_mad_u64_u32 v[2:3], null, s0, v8, v[2:3]
	v_cmp_gt_u64_e32 vcc_lo, s[4:5], v[8:9]
	v_mov_b32_e32 v8, 0
                                        ; implicit-def: $vgpr9
	v_add3_u32 v3, v7, v3, v6
	v_mov_b32_e32 v6, 0
	v_mov_b32_e32 v7, 0
	v_lshlrev_b64 v[14:15], 2, v[2:3]
                                        ; implicit-def: $vgpr2
                                        ; implicit-def: $vgpr3
	s_and_saveexec_b32 s1, vcc_lo
	s_cbranch_execz .LBB0_11
; %bb.10:
	v_mov_b32_e32 v13, 0
	v_add_co_u32 v0, s0, s2, v14
	v_add_co_ci_u32_e64 v4, s0, s3, v15, s0
	v_lshlrev_b64 v[2:3], 2, v[12:13]
	v_add_co_u32 v5, s0, v0, v2
	v_add_co_ci_u32_e64 v6, s0, v4, v3, s0
	v_add_co_u32 v8, s0, 0x800, v5
	v_add_co_ci_u32_e64 v9, s0, 0, v6, s0
	;; [unrolled: 2-line block ×3, first 2 shown]
	s_clause 0x17
	global_load_dword v27, v[8:9], off offset:976
	global_load_dword v26, v[8:9], off offset:1228
	;; [unrolled: 1-line block ×12, first 2 shown]
	global_load_dword v4, v[5:6], off
	global_load_dword v29, v[5:6], off offset:252
	global_load_dword v45, v[5:6], off offset:504
	;; [unrolled: 1-line block ×11, first 2 shown]
	s_waitcnt vmcnt(23)
	v_lshrrev_b32_e32 v28, 16, v27
	s_waitcnt vmcnt(22)
	v_lshrrev_b32_e32 v37, 16, v26
	;; [unrolled: 2-line block ×12, first 2 shown]
.LBB0_11:
	s_or_b32 exec_lo, exec_lo, s1
	s_waitcnt vmcnt(11)
	v_sub_f16_e32 v31, v4, v27
	s_waitcnt vmcnt(10)
	v_sub_f16_e32 v26, v29, v26
	s_waitcnt vmcnt(9)
	v_sub_f16_e32 v24, v45, v24
	v_lshrrev_b32_e32 v30, 16, v4
	s_waitcnt vmcnt(8)
	v_sub_f16_e32 v22, v18, v22
	v_fma_f16 v4, v4, 2.0, -v31
	v_fma_f16 v34, v29, 2.0, -v26
	v_add_nc_u32_e32 v27, 63, v12
	s_waitcnt vmcnt(7)
	v_sub_f16_e32 v33, v17, v13
	v_fma_f16 v35, v45, 2.0, -v24
	v_add_nc_u32_e32 v13, 0x7e, v12
	v_sub_f16_e32 v32, v30, v28
	v_fma_f16 v36, v18, 2.0, -v22
	v_add_nc_u32_e32 v28, 0xbd, v12
	s_waitcnt vmcnt(2)
	v_sub_f16_e32 v21, v6, v21
	v_sub_f16_e32 v20, v16, v20
	s_waitcnt vmcnt(0)
	v_sub_f16_e32 v53, v8, v25
	v_lshl_add_u32 v58, v12, 2, 0
	v_pack_b32_f16 v4, v4, v31
	v_lshl_add_u32 v59, v27, 2, 0
	v_pack_b32_f16 v25, v34, v26
	v_sub_f16_e32 v2, v11, v2
	v_lshl_add_u32 v60, v13, 2, 0
	v_pack_b32_f16 v24, v35, v24
	v_sub_f16_e32 v50, v10, v0
	v_lshl_add_u32 v61, v28, 2, 0
	v_pack_b32_f16 v22, v36, v22
	v_fma_f16 v38, v17, 2.0, -v33
	v_sub_f16_e32 v52, v7, v23
	v_fma_f16 v55, v6, 2.0, -v21
	v_add_nc_u32_e32 v23, 0xfc, v12
	v_fma_f16 v39, v16, 2.0, -v20
	ds_write_b32 v58, v4
	ds_write_b32 v59, v25
	;; [unrolled: 1-line block ×4, first 2 shown]
	v_add_nc_u32_e32 v24, 0x13b, v12
	v_fma_f16 v40, v11, 2.0, -v2
	v_add_nc_u32_e32 v25, 0x17a, v12
	v_sub_f16_e32 v51, v5, v3
	v_fma_f16 v3, v10, 2.0, -v50
	v_add_nc_u32_e32 v26, 0x1b9, v12
	v_lshrrev_b32_e32 v18, 16, v18
	v_fma_f16 v56, v7, 2.0, -v52
	v_lshl_add_u32 v62, v23, 2, 0
	v_pack_b32_f16 v4, v38, v33
	v_pack_b32_f16 v21, v55, v21
	v_lshrrev_b32_e32 v55, 16, v29
	v_lshl_add_u32 v63, v24, 2, 0
	v_pack_b32_f16 v20, v39, v20
	v_lshl_add_u32 v64, v25, 2, 0
	v_pack_b32_f16 v2, v40, v2
	;; [unrolled: 2-line block ×3, first 2 shown]
	v_fma_f16 v54, v5, 2.0, -v51
	v_add_nc_u32_e32 v50, 0x1f8, v12
	v_sub_f16_e32 v48, v18, v48
	ds_write_b32 v62, v4
	v_add_nc_u32_e32 v4, 0x237, v12
	v_pack_b32_f16 v22, v56, v52
	v_sub_f16_e32 v56, v55, v37
	ds_write_b32 v63, v20
	ds_write_b32 v64, v2
	;; [unrolled: 1-line block ×3, first 2 shown]
	v_add_nc_u32_e32 v3, 0x276, v12
	v_fma_f16 v30, v30, 2.0, -v32
	v_fma_f16 v57, v8, 2.0, -v53
	v_lshlrev_b32_e32 v0, 1, v12
	v_lshl_add_u32 v66, v50, 2, 0
	v_pack_b32_f16 v20, v54, v51
	v_add_nc_u32_e32 v2, 0x2b5, v12
	v_fma_f16 v18, v18, 2.0, -v48
	v_lshl_add_u32 v51, v4, 2, 0
	v_fma_f16 v55, v55, 2.0, -v56
	v_lshl_add_u32 v54, v3, 2, 0
	v_lshrrev_b32_e32 v45, 16, v45
	v_lshrrev_b32_e32 v17, 16, v17
	;; [unrolled: 1-line block ×4, first 2 shown]
	v_lshl_add_u32 v52, v2, 2, 0
	v_pack_b32_f16 v31, v57, v53
	ds_write_b32 v66, v20
	ds_write_b32 v51, v21
	;; [unrolled: 1-line block ×3, first 2 shown]
	v_add_nc_u32_e32 v22, 0, v0
	v_pack_b32_f16 v53, v30, v32
	v_lshrrev_b32_e32 v16, 16, v16
	v_pack_b32_f16 v18, v18, v48
	v_lshrrev_b32_e32 v10, 16, v10
	v_pack_b32_f16 v55, v55, v56
	v_sub_f16_e32 v49, v45, v49
	v_sub_f16_e32 v44, v17, v44
	;; [unrolled: 1-line block ×3, first 2 shown]
	v_lshrrev_b32_e32 v6, 16, v6
	v_lshrrev_b32_e32 v7, 16, v7
	v_lshrrev_b32_e32 v8, 16, v8
	v_sub_f16_e32 v9, v5, v9
	ds_write_b32 v52, v31
	s_waitcnt lgkmcnt(0)
	s_barrier
	buffer_gl0_inv
	ds_read_u16 v20, v22 offset:1764
	ds_read_u16 v21, v22 offset:1890
	ds_read_u16 v36, v22
	ds_read_u16 v29, v22 offset:126
	ds_read_u16 v30, v22 offset:252
	;; [unrolled: 1-line block ×21, first 2 shown]
	s_waitcnt lgkmcnt(0)
	s_barrier
	buffer_gl0_inv
	ds_write_b32 v58, v53
	ds_write_b32 v59, v55
	v_sub_f16_e32 v46, v16, v46
	ds_write_b32 v61, v18
	v_sub_f16_e32 v18, v10, v42
	v_fma_f16 v45, v45, 2.0, -v49
	v_fma_f16 v17, v17, 2.0, -v44
	;; [unrolled: 1-line block ×3, first 2 shown]
	v_sub_f16_e32 v19, v6, v19
	v_sub_f16_e32 v41, v7, v41
	;; [unrolled: 1-line block ×3, first 2 shown]
	v_fma_f16 v5, v5, 2.0, -v9
	v_fma_f16 v16, v16, 2.0, -v46
	;; [unrolled: 1-line block ×3, first 2 shown]
	v_pack_b32_f16 v45, v45, v49
	v_pack_b32_f16 v17, v17, v44
	;; [unrolled: 1-line block ×3, first 2 shown]
	v_fma_f16 v6, v6, 2.0, -v19
	v_fma_f16 v7, v7, 2.0, -v41
	;; [unrolled: 1-line block ×3, first 2 shown]
	v_pack_b32_f16 v5, v5, v9
	v_pack_b32_f16 v16, v16, v46
	;; [unrolled: 1-line block ×3, first 2 shown]
	ds_write_b32 v60, v45
	ds_write_b32 v62, v17
	;; [unrolled: 1-line block ×5, first 2 shown]
	v_pack_b32_f16 v6, v6, v19
	v_pack_b32_f16 v7, v7, v41
	ds_write_b32 v66, v5
	v_pack_b32_f16 v5, v8, v42
	v_and_b32_e32 v41, 1, v27
	v_and_b32_e32 v42, 1, v28
	;; [unrolled: 1-line block ×4, first 2 shown]
	ds_write_b32 v51, v6
	ds_write_b32 v54, v7
	;; [unrolled: 1-line block ×3, first 2 shown]
	v_lshlrev_b32_e32 v5, 2, v41
	v_lshlrev_b32_e32 v6, 2, v42
	;; [unrolled: 1-line block ×3, first 2 shown]
	v_and_b32_e32 v45, 1, v4
	v_and_b32_e32 v46, 1, v2
	;; [unrolled: 1-line block ×3, first 2 shown]
	v_lshlrev_b32_e32 v8, 2, v44
	s_waitcnt lgkmcnt(0)
	s_barrier
	buffer_gl0_inv
	s_clause 0x2
	global_load_dword v48, v5, s[8:9]
	global_load_dword v49, v6, s[8:9]
	;; [unrolled: 1-line block ×3, first 2 shown]
	v_lshlrev_b32_e32 v5, 2, v45
	v_lshlrev_b32_e32 v6, 2, v46
	v_lshlrev_b32_e32 v7, 2, v47
	s_clause 0x3
	global_load_dword v52, v8, s[8:9]
	global_load_dword v53, v5, s[8:9]
	global_load_dword v54, v6, s[8:9]
	global_load_dword v55, v7, s[8:9]
	v_lshlrev_b32_e32 v6, 1, v13
	v_lshlrev_b32_e32 v8, 1, v23
	;; [unrolled: 1-line block ×9, first 2 shown]
	v_and_or_b32 v56, 0x7c, v0, v47
	v_and_or_b32 v50, 0x1fc, v6, v47
	;; [unrolled: 1-line block ×10, first 2 shown]
	v_lshl_add_u32 v61, v50, 1, 0
	v_lshl_add_u32 v62, v43, 1, 0
	;; [unrolled: 1-line block ×6, first 2 shown]
	ds_read_u16 v43, v22 offset:1638
	ds_read_u16 v44, v22 offset:1890
	ds_read_u16 v45, v22 offset:1764
	ds_read_u16 v46, v22 offset:2520
	ds_read_u16 v47, v22 offset:2646
	ds_read_u16 v50, v22 offset:2772
	ds_read_u16 v76, v22 offset:2898
	ds_read_u16 v77, v22 offset:2394
	ds_read_u16 v78, v22 offset:2268
	ds_read_u16 v79, v22 offset:2142
	ds_read_u16 v80, v22 offset:2016
	ds_read_u16 v81, v22 offset:1008
	ds_read_u16 v82, v22 offset:1134
	ds_read_u16 v83, v22 offset:1512
	ds_read_u16 v84, v22 offset:1386
	ds_read_u16 v85, v22 offset:1260
	ds_read_u16 v86, v22
	ds_read_u16 v87, v22 offset:126
	ds_read_u16 v88, v22 offset:252
	;; [unrolled: 1-line block ×7, first 2 shown]
	v_lshlrev_b32_e32 v5, 1, v27
	v_lshlrev_b32_e32 v7, 1, v28
	v_lshl_add_u32 v56, v56, 1, 0
	v_lshl_add_u32 v58, v58, 1, 0
	v_lshl_add_u32 v59, v59, 1, 0
	v_and_or_b32 v41, 0xfc, v5, v41
	v_and_or_b32 v42, 0x1fc, v7, v42
	v_lshl_add_u32 v60, v60, 1, 0
	s_waitcnt vmcnt(0) lgkmcnt(0)
	s_barrier
	v_lshl_add_u32 v41, v41, 1, 0
	v_lshl_add_u32 v42, v42, 1, 0
	buffer_gl0_inv
	v_and_b32_e32 v4, 3, v4
	v_and_b32_e32 v3, 3, v3
	v_and_b32_e32 v2, 3, v2
	v_mul_f16_sdwa v94, v43, v48 dst_sel:DWORD dst_unused:UNUSED_PAD src0_sel:DWORD src1_sel:WORD_1
	v_mul_f16_sdwa v96, v44, v49 dst_sel:DWORD dst_unused:UNUSED_PAD src0_sel:DWORD src1_sel:WORD_1
	;; [unrolled: 1-line block ×9, first 2 shown]
	v_fma_f16 v21, v21, v49, -v96
	v_fmac_f16_e32 v97, v44, v49
	v_mul_f16_sdwa v96, v72, v55 dst_sel:DWORD dst_unused:UNUSED_PAD src0_sel:DWORD src1_sel:WORD_1
	v_fma_f16 v49, v69, v51, -v98
	v_fmac_f16_e32 v99, v79, v51
	v_mul_f16_sdwa v51, v76, v54 dst_sel:DWORD dst_unused:UNUSED_PAD src0_sel:DWORD src1_sel:WORD_1
	v_mul_f16_sdwa v100, v77, v52 dst_sel:DWORD dst_unused:UNUSED_PAD src0_sel:DWORD src1_sel:WORD_1
	;; [unrolled: 1-line block ×7, first 2 shown]
	v_fma_f16 v57, v57, v48, -v94
	v_fmac_f16_e32 v95, v43, v48
	v_mul_f16_sdwa v43, v78, v55 dst_sel:DWORD dst_unused:UNUSED_PAD src0_sel:DWORD src1_sel:WORD_1
	v_mul_f16_sdwa v48, v46, v55 dst_sel:DWORD dst_unused:UNUSED_PAD src0_sel:DWORD src1_sel:WORD_1
	;; [unrolled: 1-line block ×3, first 2 shown]
	v_fmac_f16_e32 v103, v47, v53
	v_fma_f16 v47, v67, v55, -v104
	v_mul_f16_sdwa v69, v74, v55 dst_sel:DWORD dst_unused:UNUSED_PAD src0_sel:DWORD src1_sel:WORD_1
	v_fma_f16 v20, v20, v55, -v106
	v_fmac_f16_e32 v96, v46, v55
	v_fma_f16 v46, v75, v54, -v51
	v_mul_f16_sdwa v79, v75, v54 dst_sel:DWORD dst_unused:UNUSED_PAD src0_sel:DWORD src1_sel:WORD_1
	v_fma_f16 v71, v71, v52, -v100
	v_fmac_f16_e32 v101, v77, v52
	v_fma_f16 v52, v73, v53, -v102
	v_fmac_f16_e32 v105, v83, v55
	v_fmac_f16_e32 v107, v45, v55
	v_fma_f16 v45, v68, v55, -v108
	v_fma_f16 v43, v70, v55, -v43
	;; [unrolled: 1-line block ×4, first 2 shown]
	v_sub_f16_e32 v47, v36, v47
	v_fmac_f16_e32 v69, v50, v55
	v_sub_f16_e32 v50, v29, v57
	v_sub_f16_e32 v20, v30, v20
	;; [unrolled: 1-line block ×3, first 2 shown]
	v_mul_f16_sdwa v94, v68, v55 dst_sel:DWORD dst_unused:UNUSED_PAD src0_sel:DWORD src1_sel:WORD_1
	v_mul_f16_sdwa v109, v70, v55 dst_sel:DWORD dst_unused:UNUSED_PAD src0_sel:DWORD src1_sel:WORD_1
	v_fmac_f16_e32 v79, v76, v54
	v_sub_f16_e32 v21, v31, v21
	v_sub_f16_e32 v45, v32, v45
	;; [unrolled: 1-line block ×9, first 2 shown]
	v_fma_f16 v36, v36, 2.0, -v47
	v_fma_f16 v29, v29, 2.0, -v50
	;; [unrolled: 1-line block ×4, first 2 shown]
	v_fmac_f16_e32 v94, v80, v55
	v_fmac_f16_e32 v109, v78, v55
	ds_write_b16 v56, v47 offset:4
	v_fma_f16 v31, v31, 2.0, -v21
	v_fma_f16 v32, v32, 2.0, -v45
	;; [unrolled: 1-line block ×9, first 2 shown]
	ds_write_b16 v56, v36
	ds_write_b16 v41, v29
	ds_write_b16 v41, v50 offset:4
	ds_write_b16 v61, v30
	ds_write_b16 v61, v20 offset:4
	;; [unrolled: 2-line block ×11, first 2 shown]
	v_sub_f16_e32 v40, v87, v95
	s_waitcnt lgkmcnt(0)
	s_barrier
	buffer_gl0_inv
	ds_read_u16 v39, v22 offset:1764
	ds_read_u16 v43, v22 offset:1890
	ds_read_u16 v31, v22
	ds_read_u16 v20, v22 offset:126
	ds_read_u16 v21, v22 offset:252
	;; [unrolled: 1-line block ×21, first 2 shown]
	s_waitcnt lgkmcnt(0)
	s_barrier
	buffer_gl0_inv
	v_sub_f16_e32 v57, v88, v107
	v_fma_f16 v67, v87, 2.0, -v40
	ds_write_b16 v56, v55
	v_sub_f16_e32 v55, v89, v97
	ds_write_b16 v56, v54 offset:4
	v_fma_f16 v54, v88, 2.0, -v57
	ds_write_b16 v41, v67
	ds_write_b16 v41, v40 offset:4
	v_sub_f16_e32 v41, v90, v94
	v_fma_f16 v40, v89, 2.0, -v55
	ds_write_b16 v61, v54
	ds_write_b16 v61, v57 offset:4
	v_sub_f16_e32 v54, v91, v99
	ds_write_b16 v42, v55 offset:4
	ds_write_b16 v42, v40
	v_fma_f16 v40, v90, 2.0, -v41
	v_sub_f16_e32 v42, v92, v109
	v_sub_f16_e32 v56, v93, v101
	v_fma_f16 v55, v91, 2.0, -v54
	ds_write_b16 v58, v40
	ds_write_b16 v58, v41 offset:4
	v_fma_f16 v40, v92, 2.0, -v42
	ds_write_b16 v62, v54 offset:4
	v_sub_f16_e32 v54, v81, v96
	v_fma_f16 v41, v93, 2.0, -v56
	ds_write_b16 v62, v55
	ds_write_b16 v59, v40
	ds_write_b16 v59, v42 offset:4
	ds_write_b16 v63, v41
	v_sub_f16_e32 v40, v82, v103
	v_fma_f16 v41, v81, 2.0, -v54
	v_sub_f16_e32 v42, v85, v69
	v_sub_f16_e32 v55, v84, v79
	ds_write_b16 v63, v56 offset:4
	v_fma_f16 v56, v82, 2.0, -v40
	ds_write_b16 v60, v41
	ds_write_b16 v60, v54 offset:4
	v_fma_f16 v41, v85, 2.0, -v42
	v_fma_f16 v54, v84, 2.0, -v55
	v_and_b32_e32 v57, 3, v24
	ds_write_b16 v64, v56
	v_and_b32_e32 v56, 3, v27
	ds_write_b16 v64, v40 offset:4
	ds_write_b16 v65, v41
	ds_write_b16 v65, v42 offset:4
	ds_write_b16 v66, v54
	ds_write_b16 v66, v55 offset:4
	v_and_b32_e32 v54, 3, v13
	v_and_b32_e32 v55, 3, v28
	v_and_b32_e32 v58, 3, v25
	v_lshlrev_b32_e32 v40, 2, v56
	v_lshlrev_b32_e32 v59, 2, v57
	;; [unrolled: 1-line block ×5, first 2 shown]
	v_and_b32_e32 v61, 3, v26
	v_and_b32_e32 v63, 3, v12
	s_waitcnt lgkmcnt(0)
	s_barrier
	buffer_gl0_inv
	s_clause 0x4
	global_load_dword v62, v40, s[8:9] offset:8
	global_load_dword v64, v41, s[8:9] offset:8
	;; [unrolled: 1-line block ×5, first 2 shown]
	v_lshlrev_b32_e32 v40, 2, v61
	v_lshlrev_b32_e32 v41, 2, v4
	;; [unrolled: 1-line block ×3, first 2 shown]
	s_clause 0x2
	global_load_dword v66, v40, s[8:9] offset:8
	global_load_dword v67, v41, s[8:9] offset:8
	;; [unrolled: 1-line block ×3, first 2 shown]
	v_lshlrev_b32_e32 v40, 2, v3
	v_lshlrev_b32_e32 v41, 2, v2
	s_clause 0x1
	global_load_dword v69, v40, s[8:9] offset:8
	global_load_dword v70, v41, s[8:9] offset:8
	v_and_or_b32 v71, 0x78, v0, v63
	v_and_or_b32 v5, 0xf8, v5, v56
	;; [unrolled: 1-line block ×11, first 2 shown]
	v_lshl_add_u32 v17, v71, 1, 0
	ds_read_u16 v19, v22 offset:1638
	ds_read_u16 v54, v22 offset:1764
	;; [unrolled: 1-line block ×16, first 2 shown]
	ds_read_u16 v80, v22
	ds_read_u16 v81, v22 offset:126
	ds_read_u16 v82, v22 offset:252
	;; [unrolled: 1-line block ×7, first 2 shown]
	v_and_b32_e32 v40, 7, v12
	v_and_b32_e32 v41, 7, v27
	v_and_or_b32 v3, 0x5f8, v18, v3
	s_waitcnt vmcnt(0) lgkmcnt(0)
	s_barrier
	buffer_gl0_inv
	v_lshl_add_u32 v5, v5, 1, 0
	v_lshl_add_u32 v6, v6, 1, 0
	v_lshlrev_b32_e32 v72, 3, v40
	v_and_b32_e32 v42, 7, v13
	v_lshlrev_b32_e32 v18, 3, v41
	v_lshl_add_u32 v7, v7, 1, 0
	v_lshl_add_u32 v8, v8, 1, 0
	;; [unrolled: 1-line block ×9, first 2 shown]
	v_mul_f16_sdwa v89, v53, v62 dst_sel:DWORD dst_unused:UNUSED_PAD src0_sel:DWORD src1_sel:WORD_1
	v_mul_f16_sdwa v88, v19, v62 dst_sel:DWORD dst_unused:UNUSED_PAD src0_sel:DWORD src1_sel:WORD_1
	;; [unrolled: 1-line block ×5, first 2 shown]
	v_fmac_f16_e32 v89, v19, v62
	v_mul_f16_sdwa v92, v55, v65 dst_sel:DWORD dst_unused:UNUSED_PAD src0_sel:DWORD src1_sel:WORD_1
	v_mul_f16_sdwa v93, v43, v65 dst_sel:DWORD dst_unused:UNUSED_PAD src0_sel:DWORD src1_sel:WORD_1
	;; [unrolled: 1-line block ×17, first 2 shown]
	v_fma_f16 v53, v53, v62, -v88
	v_mul_f16_sdwa v88, v47, v69 dst_sel:DWORD dst_unused:UNUSED_PAD src0_sel:DWORD src1_sel:WORD_1
	v_mul_f16_sdwa v62, v45, v70 dst_sel:DWORD dst_unused:UNUSED_PAD src0_sel:DWORD src1_sel:WORD_1
	v_fma_f16 v44, v44, v68, -v100
	v_fmac_f16_e32 v101, v77, v68
	v_fma_f16 v39, v39, v64, -v90
	v_fmac_f16_e32 v91, v54, v64
	v_fma_f16 v51, v51, v60, -v96
	v_fma_f16 v50, v50, v66, -v98
	;; [unrolled: 1-line block ×8, first 2 shown]
	v_fmac_f16_e32 v93, v55, v65
	v_fma_f16 v52, v52, v59, -v94
	v_fmac_f16_e32 v95, v73, v59
	v_fmac_f16_e32 v97, v56, v60
	;; [unrolled: 1-line block ×8, first 2 shown]
	v_sub_f16_e32 v44, v31, v44
	v_sub_f16_e32 v63, v80, v101
	;; [unrolled: 1-line block ×24, first 2 shown]
	v_fma_f16 v31, v31, 2.0, -v44
	ds_write_b16 v17, v44 offset:8
	v_fma_f16 v44, v80, 2.0, -v63
	v_fma_f16 v20, v20, 2.0, -v45
	;; [unrolled: 1-line block ×23, first 2 shown]
	ds_write_b16 v17, v31
	ds_write_b16 v5, v20
	ds_write_b16 v5, v45 offset:8
	ds_write_b16 v6, v21
	ds_write_b16 v6, v39 offset:8
	;; [unrolled: 2-line block ×11, first 2 shown]
	s_waitcnt lgkmcnt(0)
	s_barrier
	buffer_gl0_inv
	ds_read_u16 v39, v22
	ds_read_u16 v38, v22 offset:126
	ds_read_u16 v37, v22 offset:252
	;; [unrolled: 1-line block ×23, first 2 shown]
	s_waitcnt lgkmcnt(0)
	s_barrier
	buffer_gl0_inv
	ds_write_b16 v17, v44
	ds_write_b16 v17, v63 offset:8
	ds_write_b16 v5, v80
	ds_write_b16 v5, v64 offset:8
	;; [unrolled: 2-line block ×12, first 2 shown]
	v_and_b32_e32 v44, 7, v28
	v_and_b32_e32 v63, 7, v25
	s_waitcnt lgkmcnt(0)
	s_barrier
	buffer_gl0_inv
	s_clause 0x1
	global_load_dwordx2 v[6:7], v72, s[8:9] offset:24
	global_load_dwordx2 v[2:3], v18, s[8:9] offset:24
	v_lshlrev_b32_e32 v4, 3, v42
	v_lshlrev_b32_e32 v8, 3, v44
	v_and_b32_e32 v45, 7, v23
	v_and_b32_e32 v46, 7, v24
	v_lshlrev_b32_e32 v18, 3, v63
	v_and_b32_e32 v64, 7, v26
	s_clause 0x1
	global_load_dwordx2 v[4:5], v4, s[8:9] offset:24
	global_load_dwordx2 v[8:9], v8, s[8:9] offset:24
	v_lshlrev_b32_e32 v10, 3, v45
	v_lshlrev_b32_e32 v16, 3, v46
	global_load_dwordx2 v[20:21], v18, s[8:9] offset:24
	v_lshlrev_b32_e32 v18, 3, v64
	v_lshrrev_b32_e32 v29, 3, v12
	s_clause 0x1
	global_load_dwordx2 v[10:11], v10, s[8:9] offset:24
	global_load_dwordx2 v[16:17], v16, s[8:9] offset:24
	v_and_b32_e32 v32, 0xff, v12
	global_load_dwordx2 v[18:19], v18, s[8:9] offset:24
	v_lshrrev_b32_e32 v71, 3, v25
	v_mul_u32_u24_e32 v65, 24, v29
	v_lshrrev_b32_e32 v66, 3, v27
	v_lshrrev_b32_e32 v67, 3, v28
	v_mul_lo_u16 v73, 0xab, v32
	v_and_b32_e32 v74, 0xff, v27
	v_and_b32_e32 v32, 0xff, v28
	v_mul_u32_u24_e32 v71, 24, v71
	v_or_b32_e32 v65, v65, v40
	v_mul_u32_u24_e32 v66, 24, v66
	v_mul_u32_u24_e32 v67, 24, v67
	v_lshrrev_b16 v40, 12, v73
	v_mul_lo_u16 v73, 0xab, v74
	v_mul_lo_u16 v77, 0xab, v32
	v_or_b32_e32 v63, v71, v63
	v_or_b32_e32 v66, v66, v41
	;; [unrolled: 1-line block ×3, first 2 shown]
	v_lshrrev_b16 v41, 12, v73
	v_lshrrev_b16 v44, 12, v77
	v_lshl_add_u32 v73, v63, 1, 0
	ds_read_u16 v63, v22 offset:1008
	ds_read_u16 v77, v22 offset:1134
	;; [unrolled: 1-line block ×16, first 2 shown]
	ds_read_u16 v92, v22
	ds_read_u16 v93, v22 offset:126
	ds_read_u16 v94, v22 offset:252
	;; [unrolled: 1-line block ×7, first 2 shown]
	v_lshrrev_b32_e32 v29, 3, v13
	v_lshrrev_b32_e32 v68, 3, v23
	;; [unrolled: 1-line block ×3, first 2 shown]
	v_and_b32_e32 v43, 0xff, v13
	v_lshrrev_b32_e32 v72, 3, v26
	v_mul_u32_u24_e32 v76, 24, v29
	v_mul_u32_u24_e32 v68, 24, v68
	;; [unrolled: 1-line block ×3, first 2 shown]
	v_mul_lo_u16 v74, 0xab, v43
	v_mul_u32_u24_e32 v72, 24, v72
	v_mov_b32_e32 v69, 0xaaab
	v_or_b32_e32 v76, v76, v42
	v_or_b32_e32 v45, v68, v45
	;; [unrolled: 1-line block ×3, first 2 shown]
	v_mul_lo_u16 v68, v40, 24
	v_lshrrev_b16 v42, 12, v74
	v_or_b32_e32 v64, v72, v64
	v_lshl_add_u32 v65, v65, 1, 0
	v_mul_u32_u24_sdwa v75, v23, v69 dst_sel:DWORD dst_unused:UNUSED_PAD src0_sel:WORD_0 src1_sel:DWORD
	v_lshl_add_u32 v71, v45, 1, 0
	v_lshl_add_u32 v72, v46, 1, 0
	v_sub_nc_u16 v46, v12, v68
	v_mul_lo_u16 v45, v41, 24
	v_mul_lo_u16 v68, v42, 24
	;; [unrolled: 1-line block ×3, first 2 shown]
	v_lshl_add_u32 v66, v66, 1, 0
	v_lshl_add_u32 v64, v64, 1, 0
	s_waitcnt vmcnt(0) lgkmcnt(0)
	s_barrier
	buffer_gl0_inv
	v_mov_b32_e32 v31, 3
	v_lshl_add_u32 v70, v76, 1, 0
	v_lshl_add_u32 v67, v67, 1, 0
	v_sub_nc_u16 v45, v27, v45
	v_mul_lo_u16 v43, v43, 57
	v_lshlrev_b32_sdwa v76, v31, v46 dst_sel:DWORD dst_unused:UNUSED_PAD src0_sel:DWORD src1_sel:BYTE_0
	v_mul_f16_sdwa v100, v63, v6 dst_sel:DWORD dst_unused:UNUSED_PAD src0_sel:DWORD src1_sel:WORD_1
	v_mul_f16_sdwa v101, v61, v6 dst_sel:DWORD dst_unused:UNUSED_PAD src0_sel:DWORD src1_sel:WORD_1
	;; [unrolled: 1-line block ×9, first 2 shown]
	v_fma_f16 v61, v61, v6, -v100
	v_mul_f16_sdwa v100, v57, v4 dst_sel:DWORD dst_unused:UNUSED_PAD src0_sel:DWORD src1_sel:WORD_1
	v_fmac_f16_e32 v101, v63, v6
	v_mul_f16_sdwa v6, v86, v5 dst_sel:DWORD dst_unused:UNUSED_PAD src0_sel:DWORD src1_sel:WORD_1
	v_fma_f16 v62, v62, v7, -v102
	v_mul_f16_sdwa v63, v58, v5 dst_sel:DWORD dst_unused:UNUSED_PAD src0_sel:DWORD src1_sel:WORD_1
	v_fmac_f16_e32 v103, v84, v7
	v_mul_f16_sdwa v7, v79, v8 dst_sel:DWORD dst_unused:UNUSED_PAD src0_sel:DWORD src1_sel:WORD_1
	v_mul_f16_sdwa v84, v55, v8 dst_sel:DWORD dst_unused:UNUSED_PAD src0_sel:DWORD src1_sel:WORD_1
	;; [unrolled: 1-line block ×3, first 2 shown]
	v_fma_f16 v59, v59, v2, -v104
	v_mul_f16_sdwa v104, v56, v9 dst_sel:DWORD dst_unused:UNUSED_PAD src0_sel:DWORD src1_sel:WORD_1
	v_fmac_f16_e32 v105, v77, v2
	v_mul_f16_sdwa v2, v80, v10 dst_sel:DWORD dst_unused:UNUSED_PAD src0_sel:DWORD src1_sel:WORD_1
	v_fma_f16 v60, v60, v3, -v106
	v_mul_f16_sdwa v77, v51, v10 dst_sel:DWORD dst_unused:UNUSED_PAD src0_sel:DWORD src1_sel:WORD_1
	v_fmac_f16_e32 v107, v85, v3
	v_mul_f16_sdwa v3, v88, v11 dst_sel:DWORD dst_unused:UNUSED_PAD src0_sel:DWORD src1_sel:WORD_1
	v_mul_f16_sdwa v85, v54, v11 dst_sel:DWORD dst_unused:UNUSED_PAD src0_sel:DWORD src1_sel:WORD_1
	;; [unrolled: 1-line block ×3, first 2 shown]
	v_fma_f16 v57, v57, v4, -v108
	v_mul_f16_sdwa v108, v49, v16 dst_sel:DWORD dst_unused:UNUSED_PAD src0_sel:DWORD src1_sel:WORD_1
	v_fmac_f16_e32 v100, v78, v4
	v_mul_f16_sdwa v4, v89, v17 dst_sel:DWORD dst_unused:UNUSED_PAD src0_sel:DWORD src1_sel:WORD_1
	v_fma_f16 v6, v58, v5, -v6
	v_fmac_f16_e32 v63, v86, v5
	v_mul_f16_sdwa v5, v82, v20 dst_sel:DWORD dst_unused:UNUSED_PAD src0_sel:DWORD src1_sel:WORD_1
	v_mul_f16_sdwa v86, v90, v21 dst_sel:DWORD dst_unused:UNUSED_PAD src0_sel:DWORD src1_sel:WORD_1
	v_fma_f16 v7, v55, v8, -v7
	v_fmac_f16_e32 v84, v79, v8
	v_mul_f16_sdwa v8, v83, v18 dst_sel:DWORD dst_unused:UNUSED_PAD src0_sel:DWORD src1_sel:WORD_1
	v_fma_f16 v56, v56, v9, -v102
	v_fmac_f16_e32 v104, v87, v9
	v_mul_f16_sdwa v9, v91, v19 dst_sel:DWORD dst_unused:UNUSED_PAD src0_sel:DWORD src1_sel:WORD_1
	v_mul_f16_sdwa v58, v53, v17 dst_sel:DWORD dst_unused:UNUSED_PAD src0_sel:DWORD src1_sel:WORD_1
	;; [unrolled: 1-line block ×6, first 2 shown]
	v_fma_f16 v2, v51, v10, -v2
	v_fmac_f16_e32 v77, v80, v10
	v_fma_f16 v3, v54, v11, -v3
	v_fmac_f16_e32 v85, v88, v11
	;; [unrolled: 2-line block ×3, first 2 shown]
	v_fma_f16 v4, v53, v17, -v4
	v_fma_f16 v5, v48, v20, -v5
	v_fma_f16 v11, v52, v21, -v86
	v_fma_f16 v8, v47, v18, -v8
	v_fma_f16 v9, v50, v19, -v9
	v_add_f16_e32 v16, v39, v61
	v_fmac_f16_e32 v58, v89, v17
	v_fmac_f16_e32 v78, v82, v20
	;; [unrolled: 1-line block ×5, first 2 shown]
	v_add_f16_e32 v17, v61, v62
	v_add_f16_e32 v19, v92, v101
	;; [unrolled: 1-line block ×6, first 2 shown]
	v_sub_f16_e32 v18, v61, v62
	v_add_f16_e32 v53, v2, v3
	v_add_f16_e32 v61, v10, v4
	;; [unrolled: 1-line block ×6, first 2 shown]
	v_sub_f16_e32 v21, v101, v103
	v_add_f16_e32 v48, v38, v59
	v_add_f16_e32 v50, v37, v57
	;; [unrolled: 1-line block ×3, first 2 shown]
	v_sub_f16_e32 v90, v84, v104
	v_sub_f16_e32 v91, v77, v85
	;; [unrolled: 1-line block ×5, first 2 shown]
	v_fmac_f16_e32 v39, -0.5, v17
	v_add_f16_e32 v17, v100, v63
	v_add_f16_e32 v19, v19, v103
	;; [unrolled: 1-line block ×4, first 2 shown]
	v_fmac_f16_e32 v92, -0.5, v20
	v_add_f16_e32 v20, v96, v77
	v_add_f16_e32 v77, v77, v85
	v_fmac_f16_e32 v38, -0.5, v47
	v_add_f16_e32 v47, v97, v108
	v_add_f16_e32 v108, v108, v58
	v_fmac_f16_e32 v37, -0.5, v49
	v_add_f16_e32 v49, v98, v78
	v_add_f16_e32 v78, v78, v55
	v_fmac_f16_e32 v36, -0.5, v51
	v_add_f16_e32 v51, v99, v79
	v_add_f16_e32 v79, v79, v87
	v_add_f16_e32 v80, v34, v10
	v_sub_f16_e32 v88, v105, v107
	v_add_f16_e32 v105, v93, v105
	v_add_f16_e32 v54, v35, v2
	;; [unrolled: 1-line block ×4, first 2 shown]
	v_sub_f16_e32 v89, v100, v63
	v_sub_f16_e32 v59, v59, v60
	v_fmac_f16_e32 v35, -0.5, v53
	v_fmac_f16_e32 v34, -0.5, v61
	;; [unrolled: 1-line block ×5, first 2 shown]
	v_sub_f16_e32 v57, v57, v6
	v_add_f16_e32 v100, v94, v100
	v_sub_f16_e32 v7, v7, v56
	v_sub_f16_e32 v2, v2, v3
	;; [unrolled: 1-line block ×5, first 2 shown]
	v_fmac_f16_e32 v94, -0.5, v17
	v_fmac_f16_e32 v95, -0.5, v84
	;; [unrolled: 1-line block ×4, first 2 shown]
	v_add_f16_e32 v77, v49, v55
	v_fmac_f16_e32 v98, -0.5, v78
	v_fmac_f16_e32 v99, -0.5, v79
	v_fmamk_f16 v49, v21, 0x3aee, v39
	v_fmac_f16_e32 v39, 0xbaee, v21
	v_fmamk_f16 v21, v18, 0xbaee, v92
	v_add_f16_e32 v48, v48, v60
	v_fmac_f16_e32 v92, 0x3aee, v18
	v_add_f16_e32 v4, v80, v4
	v_add_f16_e32 v80, v105, v107
	v_fmamk_f16 v18, v88, 0x3aee, v38
	v_add_f16_e32 v6, v50, v6
	v_add_f16_e32 v50, v52, v56
	;; [unrolled: 1-line block ×4, first 2 shown]
	v_fmac_f16_e32 v38, 0xbaee, v88
	v_fmamk_f16 v51, v89, 0x3aee, v37
	v_fmac_f16_e32 v37, 0xbaee, v89
	v_fmamk_f16 v52, v90, 0x3aee, v36
	;; [unrolled: 2-line block ×6, first 2 shown]
	v_fmac_f16_e32 v30, 0xbaee, v106
	ds_write_b16 v65, v16
	v_fmamk_f16 v16, v59, 0xbaee, v93
	v_add_f16_e32 v11, v82, v11
	v_add_f16_e32 v9, v86, v9
	v_add_f16_e32 v17, v100, v63
	v_add_f16_e32 v81, v103, v104
	v_add_f16_e32 v20, v20, v85
	v_add_f16_e32 v47, v47, v58
	v_fmac_f16_e32 v93, 0x3aee, v59
	v_fmamk_f16 v79, v57, 0xbaee, v94
	v_fmac_f16_e32 v94, 0x3aee, v57
	v_fmamk_f16 v82, v7, 0xbaee, v95
	;; [unrolled: 2-line block ×6, first 2 shown]
	v_fmac_f16_e32 v99, 0x3aee, v8
	ds_write_b16 v65, v49 offset:16
	ds_write_b16 v65, v39 offset:32
	ds_write_b16 v66, v48
	ds_write_b16 v66, v18 offset:16
	ds_write_b16 v66, v38 offset:32
	ds_write_b16 v70, v6
	;; [unrolled: 3-line block ×7, first 2 shown]
	ds_write_b16 v64, v56 offset:16
	ds_write_b16 v64, v30 offset:32
	s_waitcnt lgkmcnt(0)
	s_barrier
	buffer_gl0_inv
	ds_read_u16 v39, v22
	ds_read_u16 v38, v22 offset:126
	ds_read_u16 v37, v22 offset:252
	;; [unrolled: 1-line block ×23, first 2 shown]
	s_waitcnt lgkmcnt(0)
	s_barrier
	buffer_gl0_inv
	ds_write_b16 v65, v19
	ds_write_b16 v65, v21 offset:16
	ds_write_b16 v65, v92 offset:32
	ds_write_b16 v66, v80
	ds_write_b16 v66, v16 offset:16
	ds_write_b16 v66, v93 offset:32
	;; [unrolled: 3-line block ×8, first 2 shown]
	v_sub_nc_u16 v64, v13, v68
	v_lshrrev_b32_e32 v66, 20, v75
	v_mul_u32_u24_sdwa v3, v24, v69 dst_sel:DWORD dst_unused:UNUSED_PAD src0_sel:WORD_0 src1_sel:DWORD
	v_sub_nc_u16 v65, v28, v74
	v_lshlrev_b32_sdwa v2, v31, v45 dst_sel:DWORD dst_unused:UNUSED_PAD src0_sel:DWORD src1_sel:BYTE_0
	v_lshlrev_b32_sdwa v4, v31, v64 dst_sel:DWORD dst_unused:UNUSED_PAD src0_sel:DWORD src1_sel:BYTE_0
	v_mul_lo_u16 v5, v66, 24
	v_lshrrev_b32_e32 v68, 20, v3
	v_mul_u32_u24_sdwa v7, v25, v69 dst_sel:DWORD dst_unused:UNUSED_PAD src0_sel:WORD_0 src1_sel:DWORD
	v_lshlrev_b32_sdwa v6, v31, v65 dst_sel:DWORD dst_unused:UNUSED_PAD src0_sel:DWORD src1_sel:BYTE_0
	s_waitcnt lgkmcnt(0)
	s_barrier
	buffer_gl0_inv
	s_clause 0x1
	global_load_dwordx2 v[20:21], v76, s[8:9] offset:88
	global_load_dwordx2 v[18:19], v2, s[8:9] offset:88
	v_sub_nc_u16 v67, v23, v5
	s_clause 0x1
	global_load_dwordx2 v[4:5], v4, s[8:9] offset:88
	global_load_dwordx2 v[2:3], v6, s[8:9] offset:88
	v_mul_lo_u16 v6, v68, 24
	v_mul_u32_u24_sdwa v8, v26, v69 dst_sel:DWORD dst_unused:UNUSED_PAD src0_sel:WORD_0 src1_sel:DWORD
	v_lshrrev_b32_e32 v70, 20, v7
	v_lshlrev_b32_sdwa v7, v31, v67 dst_sel:DWORD dst_unused:UNUSED_PAD src0_sel:DWORD src1_sel:WORD_0
	v_lshlrev_b64 v[74:75], 2, v[0:1]
	v_sub_nc_u16 v69, v24, v6
	v_lshrrev_b32_e32 v72, 20, v8
	v_mul_lo_u16 v6, v70, 24
	global_load_dwordx2 v[10:11], v7, s[8:9] offset:88
	v_mov_b32_e32 v0, 0x90
	v_lshlrev_b32_sdwa v7, v31, v69 dst_sel:DWORD dst_unused:UNUSED_PAD src0_sel:DWORD src1_sel:WORD_0
	v_mov_b32_e32 v47, 1
	v_sub_nc_u16 v71, v25, v6
	v_mul_lo_u16 v6, v72, 24
	v_mul_u32_u24_sdwa v40, v40, v0 dst_sel:DWORD dst_unused:UNUSED_PAD src0_sel:WORD_0 src1_sel:DWORD
	global_load_dwordx2 v[16:17], v7, s[8:9] offset:88
	v_mul_u32_u24_e32 v66, 0x90, v66
	v_lshlrev_b32_sdwa v7, v31, v71 dst_sel:DWORD dst_unused:UNUSED_PAD src0_sel:DWORD src1_sel:WORD_0
	v_sub_nc_u16 v73, v26, v6
	v_mul_u32_u24_e32 v68, 0x90, v68
	v_mul_u32_u24_e32 v70, 0x90, v70
	;; [unrolled: 1-line block ×3, first 2 shown]
	global_load_dwordx2 v[8:9], v7, s[8:9] offset:88
	v_lshlrev_b32_sdwa v6, v31, v73 dst_sel:DWORD dst_unused:UNUSED_PAD src0_sel:DWORD src1_sel:WORD_0
	v_mul_u32_u24_sdwa v41, v41, v0 dst_sel:DWORD dst_unused:UNUSED_PAD src0_sel:WORD_0 src1_sel:DWORD
	v_mul_u32_u24_sdwa v42, v42, v0 dst_sel:DWORD dst_unused:UNUSED_PAD src0_sel:WORD_0 src1_sel:DWORD
	v_mul_u32_u24_sdwa v0, v44, v0 dst_sel:DWORD dst_unused:UNUSED_PAD src0_sel:WORD_0 src1_sel:DWORD
	v_lshlrev_b32_sdwa v44, v47, v46 dst_sel:DWORD dst_unused:UNUSED_PAD src0_sel:DWORD src1_sel:BYTE_0
	global_load_dwordx2 v[6:7], v6, s[8:9] offset:88
	v_lshlrev_b32_sdwa v46, v47, v67 dst_sel:DWORD dst_unused:UNUSED_PAD src0_sel:DWORD src1_sel:WORD_0
	v_lshlrev_b32_sdwa v67, v47, v69 dst_sel:DWORD dst_unused:UNUSED_PAD src0_sel:DWORD src1_sel:WORD_0
	;; [unrolled: 1-line block ×4, first 2 shown]
	v_lshlrev_b32_sdwa v45, v47, v45 dst_sel:DWORD dst_unused:UNUSED_PAD src0_sel:DWORD src1_sel:BYTE_0
	v_lshlrev_b32_sdwa v64, v47, v64 dst_sel:DWORD dst_unused:UNUSED_PAD src0_sel:DWORD src1_sel:BYTE_0
	;; [unrolled: 1-line block ×3, first 2 shown]
	v_add3_u32 v40, 0, v40, v44
	v_add3_u32 v44, 0, v66, v46
	;; [unrolled: 1-line block ×8, first 2 shown]
	ds_read_u16 v45, v22 offset:1008
	ds_read_u16 v64, v22 offset:1134
	;; [unrolled: 1-line block ×16, first 2 shown]
	ds_read_u16 v84, v22
	ds_read_u16 v85, v22 offset:126
	ds_read_u16 v86, v22 offset:252
	;; [unrolled: 1-line block ×7, first 2 shown]
	v_add_co_u32 v74, s0, s8, v74
	v_add_co_ci_u32_e64 v75, s0, s9, v75, s0
	v_add_nc_u32_e32 v76, -9, v12
	s_waitcnt vmcnt(0) lgkmcnt(0)
	s_barrier
	buffer_gl0_inv
	v_cmp_gt_u32_e64 s0, 9, v12
	v_cndmask_b32_e64 v27, v76, v27, s0
	v_mul_f16_sdwa v92, v45, v20 dst_sel:DWORD dst_unused:UNUSED_PAD src0_sel:DWORD src1_sel:WORD_1
	v_mul_f16_sdwa v93, v62, v20 dst_sel:DWORD dst_unused:UNUSED_PAD src0_sel:DWORD src1_sel:WORD_1
	;; [unrolled: 1-line block ×16, first 2 shown]
	v_fma_f16 v62, v62, v20, -v92
	v_mul_f16_sdwa v92, v69, v10 dst_sel:DWORD dst_unused:UNUSED_PAD src0_sel:DWORD src1_sel:WORD_1
	v_fmac_f16_e32 v93, v45, v20
	v_mul_f16_sdwa v20, v52, v10 dst_sel:DWORD dst_unused:UNUSED_PAD src0_sel:DWORD src1_sel:WORD_1
	v_fma_f16 v45, v63, v21, -v94
	v_mul_f16_sdwa v63, v80, v11 dst_sel:DWORD dst_unused:UNUSED_PAD src0_sel:DWORD src1_sel:WORD_1
	v_fmac_f16_e32 v95, v73, v21
	v_mul_f16_sdwa v21, v56, v11 dst_sel:DWORD dst_unused:UNUSED_PAD src0_sel:DWORD src1_sel:WORD_1
	v_mul_f16_sdwa v73, v70, v16 dst_sel:DWORD dst_unused:UNUSED_PAD src0_sel:DWORD src1_sel:WORD_1
	;; [unrolled: 1-line block ×3, first 2 shown]
	v_fma_f16 v60, v60, v18, -v96
	v_mul_f16_sdwa v96, v81, v17 dst_sel:DWORD dst_unused:UNUSED_PAD src0_sel:DWORD src1_sel:WORD_1
	v_fmac_f16_e32 v97, v64, v18
	v_mul_f16_sdwa v18, v55, v17 dst_sel:DWORD dst_unused:UNUSED_PAD src0_sel:DWORD src1_sel:WORD_1
	v_fma_f16 v61, v61, v19, -v98
	v_mul_f16_sdwa v64, v71, v8 dst_sel:DWORD dst_unused:UNUSED_PAD src0_sel:DWORD src1_sel:WORD_1
	v_fmac_f16_e32 v99, v77, v19
	v_mul_f16_sdwa v19, v49, v8 dst_sel:DWORD dst_unused:UNUSED_PAD src0_sel:DWORD src1_sel:WORD_1
	v_mul_f16_sdwa v77, v82, v9 dst_sel:DWORD dst_unused:UNUSED_PAD src0_sel:DWORD src1_sel:WORD_1
	;; [unrolled: 1-line block ×3, first 2 shown]
	v_fma_f16 v58, v58, v4, -v100
	v_mul_f16_sdwa v100, v72, v6 dst_sel:DWORD dst_unused:UNUSED_PAD src0_sel:DWORD src1_sel:WORD_1
	v_fmac_f16_e32 v101, v65, v4
	v_mul_f16_sdwa v4, v48, v6 dst_sel:DWORD dst_unused:UNUSED_PAD src0_sel:DWORD src1_sel:WORD_1
	v_mul_f16_sdwa v65, v83, v7 dst_sel:DWORD dst_unused:UNUSED_PAD src0_sel:DWORD src1_sel:WORD_1
	v_fma_f16 v59, v59, v5, -v102
	v_fmac_f16_e32 v103, v78, v5
	v_mul_f16_sdwa v5, v51, v7 dst_sel:DWORD dst_unused:UNUSED_PAD src0_sel:DWORD src1_sel:WORD_1
	v_fma_f16 v54, v54, v2, -v104
	v_fmac_f16_e32 v105, v68, v2
	v_fma_f16 v2, v57, v3, -v106
	v_fmac_f16_e32 v107, v79, v3
	;; [unrolled: 2-line block ×10, first 2 shown]
	v_add_f16_e32 v48, v62, v45
	v_add_f16_e32 v51, v93, v95
	;; [unrolled: 1-line block ×4, first 2 shown]
	v_sub_f16_e32 v49, v62, v45
	v_add_f16_e32 v56, v58, v59
	v_add_f16_e32 v62, v54, v2
	;; [unrolled: 1-line block ×8, first 2 shown]
	v_sub_f16_e32 v52, v93, v95
	v_sub_f16_e32 v77, v97, v99
	;; [unrolled: 1-line block ×8, first 2 shown]
	v_add_f16_e32 v93, v85, v97
	v_add_f16_e32 v96, v101, v103
	;; [unrolled: 1-line block ×13, first 2 shown]
	v_fmac_f16_e32 v39, -0.5, v48
	v_fmac_f16_e32 v84, -0.5, v51
	v_add_f16_e32 v55, v38, v60
	v_fmac_f16_e32 v38, -0.5, v53
	v_add_f16_e32 v57, v37, v58
	v_add_f16_e32 v63, v36, v54
	;; [unrolled: 1-line block ×6, first 2 shown]
	v_sub_f16_e32 v60, v60, v61
	v_fmac_f16_e32 v37, -0.5, v56
	v_fmac_f16_e32 v36, -0.5, v62
	;; [unrolled: 1-line block ×7, first 2 shown]
	v_sub_f16_e32 v58, v58, v59
	v_sub_f16_e32 v54, v54, v2
	;; [unrolled: 1-line block ×6, first 2 shown]
	v_add_f16_e32 v7, v7, v45
	v_add_f16_e32 v45, v50, v95
	v_fmac_f16_e32 v86, -0.5, v96
	v_fmac_f16_e32 v87, -0.5, v100
	;; [unrolled: 1-line block ×6, first 2 shown]
	v_fmamk_f16 v4, v52, 0x3aee, v39
	v_fmac_f16_e32 v39, 0xbaee, v52
	v_fmamk_f16 v52, v49, 0xbaee, v84
	v_add_f16_e32 v48, v55, v61
	v_fmac_f16_e32 v84, 0x3aee, v49
	v_add_f16_e32 v51, v93, v99
	v_add_f16_e32 v61, v106, v5
	v_fmamk_f16 v5, v77, 0x3aee, v38
	v_add_f16_e32 v50, v57, v59
	v_add_f16_e32 v2, v63, v2
	;; [unrolled: 1-line block ×8, first 2 shown]
	v_fmac_f16_e32 v38, 0xbaee, v77
	v_fmamk_f16 v18, v78, 0x3aee, v37
	v_fmac_f16_e32 v37, 0xbaee, v78
	v_fmamk_f16 v19, v79, 0x3aee, v36
	;; [unrolled: 2-line block ×7, first 2 shown]
	v_add_f16_e32 v53, v97, v103
	v_add_f16_e32 v55, v101, v107
	;; [unrolled: 1-line block ×3, first 2 shown]
	ds_write_b16 v40, v7
	v_fmac_f16_e32 v85, 0x3aee, v60
	v_fmamk_f16 v60, v58, 0xbaee, v86
	v_fmac_f16_e32 v86, 0x3aee, v58
	v_fmamk_f16 v58, v54, 0xbaee, v87
	;; [unrolled: 2-line block ×6, first 2 shown]
	v_fmac_f16_e32 v91, 0x3aee, v9
	ds_write_b16 v40, v4 offset:48
	ds_write_b16 v40, v39 offset:96
	ds_write_b16 v41, v48
	ds_write_b16 v41, v5 offset:48
	ds_write_b16 v41, v38 offset:96
	ds_write_b16 v42, v50
	;; [unrolled: 3-line block ×7, first 2 shown]
	ds_write_b16 v67, v62 offset:48
	ds_write_b16 v67, v30 offset:96
	s_waitcnt lgkmcnt(0)
	s_barrier
	buffer_gl0_inv
	ds_read_u16 v8, v22
	ds_read_u16 v7, v22 offset:126
	ds_read_u16 v6, v22 offset:252
	;; [unrolled: 1-line block ×23, first 2 shown]
	s_waitcnt lgkmcnt(0)
	s_barrier
	buffer_gl0_inv
	ds_write_b16 v40, v45
	ds_write_b16 v40, v52 offset:48
	ds_write_b16 v40, v84 offset:96
	ds_write_b16 v41, v51
	ds_write_b16 v41, v63 offset:48
	ds_write_b16 v41, v85 offset:96
	;; [unrolled: 3-line block ×7, first 2 shown]
	ds_write_b16 v67, v61
	ds_write_b16 v67, v68 offset:48
	v_mul_lo_u16 v0, v32, 57
	v_lshrrev_b16 v32, 12, v43
	v_mov_b32_e32 v44, 0xe38f
	ds_write_b16 v67, v91 offset:96
	s_waitcnt lgkmcnt(0)
	v_lshrrev_b16 v42, 12, v0
	v_lshlrev_b32_e32 v0, 1, v27
	v_mul_lo_u16 v27, 0x48, v32
	v_mul_u32_u24_sdwa v46, v24, v44 dst_sel:DWORD dst_unused:UNUSED_PAD src0_sel:WORD_0 src1_sel:DWORD
	v_mul_u32_u24_sdwa v50, v26, v44 dst_sel:DWORD dst_unused:UNUSED_PAD src0_sel:WORD_0 src1_sel:DWORD
	v_mul_lo_u16 v43, 0x48, v42
	v_lshlrev_b64 v[40:41], 2, v[0:1]
	v_sub_nc_u16 v1, v13, v27
	v_lshrrev_b32_e32 v46, 22, v46
	v_lshrrev_b32_e32 v50, 22, v50
	v_sub_nc_u16 v27, v28, v43
	v_mul_u32_u24_sdwa v43, v23, v44 dst_sel:DWORD dst_unused:UNUSED_PAD src0_sel:WORD_0 src1_sel:DWORD
	v_mul_u32_u24_sdwa v44, v25, v44 dst_sel:DWORD dst_unused:UNUSED_PAD src0_sel:WORD_0 src1_sel:DWORD
	v_add_co_u32 v40, s0, s8, v40
	v_add_co_ci_u32_e64 v41, s0, s9, v41, s0
	v_lshrrev_b32_e32 v43, 22, v43
	v_lshlrev_b32_sdwa v45, v31, v1 dst_sel:DWORD dst_unused:UNUSED_PAD src0_sel:DWORD src1_sel:BYTE_0
	v_lshlrev_b32_sdwa v52, v31, v27 dst_sel:DWORD dst_unused:UNUSED_PAD src0_sel:DWORD src1_sel:BYTE_0
	v_lshrrev_b32_e32 v44, 22, v44
	v_mul_lo_u16 v53, 0x48, v46
	v_mul_lo_u16 v51, 0x48, v43
	;; [unrolled: 1-line block ×3, first 2 shown]
	s_barrier
	buffer_gl0_inv
	global_load_dwordx2 v[40:41], v[40:41], off offset:280
	v_sub_nc_u16 v23, v23, v51
	global_load_dwordx2 v[50:51], v45, s[8:9] offset:280
	v_sub_nc_u16 v24, v24, v53
	global_load_dwordx2 v[52:53], v52, s[8:9] offset:280
	v_mul_lo_u16 v45, 0x48, v44
	v_sub_nc_u16 v26, v26, v54
	v_lshlrev_b32_sdwa v55, v31, v23 dst_sel:DWORD dst_unused:UNUSED_PAD src0_sel:DWORD src1_sel:WORD_0
	global_load_dwordx2 v[48:49], v[74:75], off offset:280
	v_cmp_lt_u32_e64 s0, 8, v12
	v_sub_nc_u16 v25, v25, v45
	v_lshlrev_b32_sdwa v45, v31, v24 dst_sel:DWORD dst_unused:UNUSED_PAD src0_sel:DWORD src1_sel:WORD_0
	global_load_dwordx2 v[55:56], v55, s[8:9] offset:280
	v_and_b32_e32 v26, 0xffff, v26
	v_mul_u32_u24_e32 v44, 0x1b0, v44
	v_lshlrev_b32_sdwa v31, v31, v25 dst_sel:DWORD dst_unused:UNUSED_PAD src0_sel:DWORD src1_sel:WORD_0
	global_load_dwordx2 v[57:58], v45, s[8:9] offset:280
	v_lshlrev_b32_sdwa v23, v47, v23 dst_sel:DWORD dst_unused:UNUSED_PAD src0_sel:DWORD src1_sel:WORD_0
	v_lshlrev_b32_e32 v45, 3, v26
	s_clause 0x1
	global_load_dwordx2 v[59:60], v31, s[8:9] offset:280
	global_load_dwordx2 v[61:62], v45, s[8:9] offset:280
	v_cndmask_b32_e64 v31, 0, 0x1b0, s0
	v_mov_b32_e32 v45, 0x1b0
	v_lshlrev_b32_sdwa v25, v47, v25 dst_sel:DWORD dst_unused:UNUSED_PAD src0_sel:DWORD src1_sel:WORD_0
	v_cmp_gt_u32_e64 s0, 27, v12
	v_add3_u32 v0, 0, v31, v0
	v_mul_u32_u24_e32 v31, 0x1b0, v43
	v_mul_u32_u24_e32 v43, 0x1b0, v46
	v_mul_u32_u24_sdwa v32, v32, v45 dst_sel:DWORD dst_unused:UNUSED_PAD src0_sel:WORD_0 src1_sel:DWORD
	v_mul_u32_u24_sdwa v42, v42, v45 dst_sel:DWORD dst_unused:UNUSED_PAD src0_sel:WORD_0 src1_sel:DWORD
	v_lshlrev_b32_sdwa v45, v47, v24 dst_sel:DWORD dst_unused:UNUSED_PAD src0_sel:DWORD src1_sel:WORD_0
	v_lshlrev_b32_sdwa v46, v47, v1 dst_sel:DWORD dst_unused:UNUSED_PAD src0_sel:DWORD src1_sel:BYTE_0
	v_lshlrev_b32_sdwa v47, v47, v27 dst_sel:DWORD dst_unused:UNUSED_PAD src0_sel:DWORD src1_sel:BYTE_0
	v_add3_u32 v24, 0, v31, v23
	v_add3_u32 v1, 0, v44, v25
	;; [unrolled: 1-line block ×3, first 2 shown]
	v_lshl_add_u32 v25, v26, 1, 0
	v_add3_u32 v27, 0, v32, v46
	v_add3_u32 v26, 0, v42, v47
	ds_read_u16 v32, v22 offset:1008
	ds_read_u16 v46, v22 offset:1134
	;; [unrolled: 1-line block ×16, first 2 shown]
	ds_read_u16 v67, v22
	ds_read_u16 v66, v22 offset:126
	ds_read_u16 v54, v22 offset:252
	;; [unrolled: 1-line block ×7, first 2 shown]
	s_waitcnt vmcnt(0) lgkmcnt(0)
	s_barrier
	buffer_gl0_inv
	v_mul_f16_sdwa v87, v46, v40 dst_sel:DWORD dst_unused:UNUSED_PAD src0_sel:DWORD src1_sel:WORD_1
	v_mul_f16_sdwa v98, v85, v41 dst_sel:DWORD dst_unused:UNUSED_PAD src0_sel:DWORD src1_sel:WORD_1
	;; [unrolled: 1-line block ×14, first 2 shown]
	v_fma_f16 v88, v37, v48, -v69
	v_fma_f16 v89, v39, v49, -v86
	v_mul_f16_sdwa v105, v65, v57 dst_sel:DWORD dst_unused:UNUSED_PAD src0_sel:DWORD src1_sel:WORD_1
	v_mul_f16_sdwa v106, v95, v58 dst_sel:DWORD dst_unused:UNUSED_PAD src0_sel:DWORD src1_sel:WORD_1
	;; [unrolled: 1-line block ×16, first 2 shown]
	v_fmac_f16_e32 v80, v84, v49
	v_fma_f16 v86, v34, v40, -v87
	v_fma_f16 v87, v38, v41, -v98
	v_fmac_f16_e32 v81, v85, v41
	v_fma_f16 v39, v21, v50, -v99
	v_fma_f16 v85, v36, v51, -v100
	;; [unrolled: 1-line block ×10, first 2 shown]
	v_mul_f16_sdwa v71, v9, v61 dst_sel:DWORD dst_unused:UNUSED_PAD src0_sel:DWORD src1_sel:WORD_1
	v_mul_f16_sdwa v69, v16, v62 dst_sel:DWORD dst_unused:UNUSED_PAD src0_sel:DWORD src1_sel:WORD_1
	v_fma_f16 v9, v9, v61, -v109
	v_fma_f16 v16, v16, v62, -v110
	v_fmac_f16_e32 v83, v32, v48
	v_add_f16_e32 v32, v88, v89
	v_fmac_f16_e32 v82, v46, v40
	v_fmac_f16_e32 v79, v47, v50
	;; [unrolled: 1-line block ×11, first 2 shown]
	v_add_f16_e32 v34, v86, v87
	v_add_f16_e32 v36, v39, v85
	;; [unrolled: 1-line block ×6, first 2 shown]
	v_fmac_f16_e32 v71, v91, v61
	v_fmac_f16_e32 v69, v97, v62
	v_add_f16_e32 v18, v8, v88
	v_add_f16_e32 v51, v9, v16
	v_sub_f16_e32 v53, v83, v80
	v_fmac_f16_e32 v8, -0.5, v32
	v_add_f16_e32 v33, v7, v86
	v_add_f16_e32 v35, v6, v39
	;; [unrolled: 1-line block ×7, first 2 shown]
	v_sub_f16_e32 v55, v82, v81
	v_sub_f16_e32 v56, v79, v77
	v_sub_f16_e32 v57, v78, v76
	v_sub_f16_e32 v58, v75, v73
	v_sub_f16_e32 v59, v74, v72
	v_sub_f16_e32 v60, v70, v68
	v_fmac_f16_e32 v7, -0.5, v34
	v_fmac_f16_e32 v6, -0.5, v36
	;; [unrolled: 1-line block ×6, first 2 shown]
	v_sub_f16_e32 v61, v71, v69
	v_fmac_f16_e32 v30, -0.5, v51
	v_add_f16_e32 v18, v18, v89
	v_fmamk_f16 v46, v53, 0x3aee, v8
	v_fmac_f16_e32 v8, 0xbaee, v53
	v_add_f16_e32 v34, v33, v87
	v_add_f16_e32 v36, v37, v84
	;; [unrolled: 1-line block ×6, first 2 shown]
	v_fmamk_f16 v47, v55, 0x3aee, v7
	v_fmamk_f16 v48, v56, 0x3aee, v6
	v_fmamk_f16 v49, v57, 0x3aee, v5
	v_fmamk_f16 v50, v58, 0x3aee, v4
	v_fmamk_f16 v51, v59, 0x3aee, v3
	v_fmamk_f16 v52, v60, 0x3aee, v2
	v_add_f16_e32 v35, v35, v85
	v_fmac_f16_e32 v7, 0xbaee, v55
	v_fmac_f16_e32 v6, 0xbaee, v56
	;; [unrolled: 1-line block ×6, first 2 shown]
	v_fmamk_f16 v33, v61, 0x3aee, v30
	v_fmac_f16_e32 v30, 0xbaee, v61
	ds_write_b16 v22, v18
	ds_write_b16 v22, v46 offset:144
	ds_write_b16 v22, v8 offset:288
	ds_write_b16 v0, v34
	ds_write_b16 v0, v47 offset:144
	ds_write_b16 v0, v7 offset:288
	;; [unrolled: 3-line block ×7, first 2 shown]
	ds_write_b16 v25, v32 offset:2592
	ds_write_b16 v25, v33 offset:2736
	;; [unrolled: 1-line block ×3, first 2 shown]
	s_waitcnt lgkmcnt(0)
	s_barrier
	buffer_gl0_inv
	ds_read_u16 v41, v22
	ds_read_u16 v40, v22 offset:126
	ds_read_u16 v47, v22 offset:2286
	;; [unrolled: 1-line block ×20, first 2 shown]
                                        ; implicit-def: $vgpr35
                                        ; implicit-def: $vgpr36
                                        ; implicit-def: $vgpr34
                                        ; implicit-def: $vgpr37
	s_and_saveexec_b32 s1, s0
	s_cbranch_execz .LBB0_13
; %bb.12:
	ds_read_u16 v32, v22 offset:378
	ds_read_u16 v33, v22 offset:810
	;; [unrolled: 1-line block ×7, first 2 shown]
.LBB0_13:
	s_or_b32 exec_lo, exec_lo, s1
	v_add_f16_e32 v2, v83, v80
	v_add_f16_e32 v5, v82, v81
	;; [unrolled: 1-line block ×3, first 2 shown]
	v_sub_f16_e32 v4, v88, v89
	v_sub_f16_e32 v6, v86, v87
	v_fmac_f16_e32 v67, -0.5, v2
	v_add_f16_e32 v2, v66, v82
	v_fmac_f16_e32 v66, -0.5, v5
	v_add_f16_e32 v8, v54, v79
	v_add_f16_e32 v18, v45, v78
	v_fmamk_f16 v5, v4, 0xbaee, v67
	v_fmac_f16_e32 v67, 0x3aee, v4
	v_add_f16_e32 v4, v79, v77
	v_fmamk_f16 v7, v6, 0xbaee, v66
	v_fmac_f16_e32 v66, 0x3aee, v6
	v_add_f16_e32 v6, v78, v76
	v_add_f16_e32 v8, v8, v77
	v_fmac_f16_e32 v54, -0.5, v4
	v_sub_f16_e32 v4, v39, v85
	v_add_f16_e32 v3, v3, v80
	v_fmac_f16_e32 v45, -0.5, v6
	v_sub_f16_e32 v6, v38, v84
	v_add_f16_e32 v38, v44, v75
	v_fmamk_f16 v77, v4, 0xbaee, v54
	v_fmac_f16_e32 v54, 0x3aee, v4
	v_add_f16_e32 v4, v18, v76
	v_add_f16_e32 v18, v75, v73
	v_fmamk_f16 v76, v6, 0xbaee, v45
	v_fmac_f16_e32 v45, 0x3aee, v6
	v_add_f16_e32 v6, v74, v72
	v_sub_f16_e32 v10, v10, v11
	v_fmac_f16_e32 v44, -0.5, v18
	v_sub_f16_e32 v18, v19, v21
	v_add_f16_e32 v21, v43, v74
	v_fmac_f16_e32 v43, -0.5, v6
	v_sub_f16_e32 v6, v17, v20
	v_add_f16_e32 v20, v70, v68
	v_fmamk_f16 v17, v18, 0xbaee, v44
	v_fmac_f16_e32 v44, 0x3aee, v18
	v_add_f16_e32 v18, v21, v72
	v_fmamk_f16 v21, v6, 0xbaee, v43
	v_fmac_f16_e32 v43, 0x3aee, v6
	v_add_f16_e32 v6, v71, v69
	v_add_f16_e32 v19, v38, v73
	v_add_f16_e32 v38, v42, v70
	v_fmac_f16_e32 v42, -0.5, v20
	v_add_f16_e32 v11, v31, v71
	v_fmac_f16_e32 v31, -0.5, v6
	v_sub_f16_e32 v6, v9, v16
	v_add_f16_e32 v2, v2, v81
	v_add_f16_e32 v9, v38, v68
	v_fmamk_f16 v16, v10, 0xbaee, v42
	v_fmac_f16_e32 v42, 0x3aee, v10
	v_add_f16_e32 v38, v11, v69
	v_fmamk_f16 v39, v6, 0xbaee, v31
	v_fmac_f16_e32 v31, 0x3aee, v6
	s_waitcnt lgkmcnt(0)
	s_barrier
	buffer_gl0_inv
	ds_write_b16 v22, v3
	ds_write_b16 v22, v5 offset:144
	ds_write_b16 v22, v67 offset:288
	ds_write_b16 v0, v2
	ds_write_b16 v0, v7 offset:144
	ds_write_b16 v0, v66 offset:288
	;; [unrolled: 3-line block ×7, first 2 shown]
	ds_write_b16 v25, v38 offset:2592
	ds_write_b16 v25, v39 offset:2736
	;; [unrolled: 1-line block ×3, first 2 shown]
	s_waitcnt lgkmcnt(0)
	s_barrier
	buffer_gl0_inv
	ds_read_u16 v66, v22
	ds_read_u16 v54, v22 offset:126
	ds_read_u16 v69, v22 offset:558
	;; [unrolled: 1-line block ×20, first 2 shown]
                                        ; implicit-def: $vgpr42
                                        ; implicit-def: $vgpr44
                                        ; implicit-def: $vgpr43
                                        ; implicit-def: $vgpr45
	s_and_saveexec_b32 s1, s0
	s_cbranch_execz .LBB0_15
; %bb.14:
	ds_read_u16 v38, v22 offset:378
	ds_read_u16 v39, v22 offset:810
	;; [unrolled: 1-line block ×7, first 2 shown]
.LBB0_15:
	s_or_b32 exec_lo, exec_lo, s1
	s_and_saveexec_b32 s1, vcc_lo
	s_cbranch_execz .LBB0_18
; %bb.16:
	v_mul_u32_u24_e32 v0, 6, v13
	v_mad_u32_u24 v16, v13, 6, 0xfffffe86
	v_mov_b32_e32 v17, 0
	v_lshlrev_b32_e32 v4, 2, v0
	s_clause 0x1
	global_load_dwordx4 v[0:3], v4, s[8:9] offset:856
	global_load_dwordx2 v[22:23], v4, s[8:9] offset:872
	v_mul_u32_u24_e32 v4, 6, v12
	v_mov_b32_e32 v13, v17
	v_lshlrev_b32_e32 v4, 2, v4
	s_clause 0x1
	global_load_dwordx4 v[8:11], v4, s[8:9] offset:856
	global_load_dwordx2 v[26:27], v4, s[8:9] offset:872
	v_lshlrev_b64 v[4:5], 2, v[16:17]
	v_mul_hi_u32 v16, 0x97b425f, v29
	v_add_co_u32 v18, vcc_lo, s8, v4
	v_add_co_ci_u32_e32 v19, vcc_lo, s9, v5, vcc_lo
	v_mul_u32_u24_e32 v16, 0x510, v16
	s_clause 0x1
	global_load_dwordx4 v[4:7], v[18:19], off offset:856
	global_load_dwordx2 v[24:25], v[18:19], off offset:872
	v_lshlrev_b64 v[18:19], 2, v[12:13]
	v_add_co_u32 v13, vcc_lo, s2, v14
	v_add_co_ci_u32_e32 v14, vcc_lo, s3, v15, vcc_lo
	v_lshlrev_b64 v[15:16], 2, v[16:17]
	v_add_co_u32 v13, vcc_lo, v13, v18
	v_add_co_ci_u32_e32 v14, vcc_lo, v14, v19, vcc_lo
	v_add_co_u32 v18, vcc_lo, 0x800, v13
	v_add_co_ci_u32_e32 v19, vcc_lo, 0, v14, vcc_lo
	;; [unrolled: 2-line block ×5, first 2 shown]
	s_waitcnt vmcnt(5) lgkmcnt(12)
	v_mul_f16_sdwa v29, v79, v0 dst_sel:DWORD dst_unused:UNUSED_PAD src0_sel:DWORD src1_sel:WORD_1
	s_waitcnt vmcnt(4) lgkmcnt(2)
	v_mul_f16_sdwa v88, v84, v23 dst_sel:DWORD dst_unused:UNUSED_PAD src0_sel:DWORD src1_sel:WORD_1
	v_mul_f16_sdwa v89, v81, v3 dst_sel:DWORD dst_unused:UNUSED_PAD src0_sel:DWORD src1_sel:WORD_1
	;; [unrolled: 1-line block ×4, first 2 shown]
	s_waitcnt lgkmcnt(0)
	v_mul_f16_sdwa v92, v85, v22 dst_sel:DWORD dst_unused:UNUSED_PAD src0_sel:DWORD src1_sel:WORD_1
	v_mul_f16_sdwa v93, v64, v23 dst_sel:DWORD dst_unused:UNUSED_PAD src0_sel:DWORD src1_sel:WORD_1
	;; [unrolled: 1-line block ×7, first 2 shown]
	s_waitcnt vmcnt(3)
	v_mul_f16_sdwa v99, v76, v8 dst_sel:DWORD dst_unused:UNUSED_PAD src0_sel:DWORD src1_sel:WORD_1
	s_waitcnt vmcnt(2)
	v_mul_f16_sdwa v100, v80, v27 dst_sel:DWORD dst_unused:UNUSED_PAD src0_sel:DWORD src1_sel:WORD_1
	v_mul_f16_sdwa v101, v77, v11 dst_sel:DWORD dst_unused:UNUSED_PAD src0_sel:DWORD src1_sel:WORD_1
	;; [unrolled: 1-line block ×11, first 2 shown]
	v_fma_f16 v64, v64, v23, -v88
	v_fma_f16 v65, v65, v22, -v92
	v_fmac_f16_e32 v93, v84, v23
	v_fmac_f16_e32 v97, v85, v22
	v_fma_f16 v22, v59, v0, -v29
	v_fma_f16 v23, v60, v3, -v89
	;; [unrolled: 1-line block ×4, first 2 shown]
	v_fmac_f16_e32 v94, v79, v0
	v_fmac_f16_e32 v95, v83, v2
	;; [unrolled: 1-line block ×4, first 2 shown]
	v_fma_f16 v0, v56, v8, -v99
	v_fma_f16 v1, v61, v27, -v100
	;; [unrolled: 1-line block ×6, first 2 shown]
	v_fmac_f16_e32 v105, v80, v27
	v_fmac_f16_e32 v106, v76, v8
	;; [unrolled: 1-line block ×6, first 2 shown]
	s_waitcnt vmcnt(1)
	v_mul_f16_sdwa v8, v69, v4 dst_sel:DWORD dst_unused:UNUSED_PAD src0_sel:DWORD src1_sel:WORD_1
	s_waitcnt vmcnt(0)
	v_mul_f16_sdwa v9, v73, v25 dst_sel:DWORD dst_unused:UNUSED_PAD src0_sel:DWORD src1_sel:WORD_1
	v_mul_f16_sdwa v10, v71, v7 dst_sel:DWORD dst_unused:UNUSED_PAD src0_sel:DWORD src1_sel:WORD_1
	v_mul_f16_sdwa v11, v70, v6 dst_sel:DWORD dst_unused:UNUSED_PAD src0_sel:DWORD src1_sel:WORD_1
	v_mul_f16_sdwa v26, v68, v5 dst_sel:DWORD dst_unused:UNUSED_PAD src0_sel:DWORD src1_sel:WORD_1
	v_mul_f16_sdwa v27, v72, v24 dst_sel:DWORD dst_unused:UNUSED_PAD src0_sel:DWORD src1_sel:WORD_1
	v_mul_f16_sdwa v56, v52, v25 dst_sel:DWORD dst_unused:UNUSED_PAD src0_sel:DWORD src1_sel:WORD_1
	v_mul_f16_sdwa v57, v49, v4 dst_sel:DWORD dst_unused:UNUSED_PAD src0_sel:DWORD src1_sel:WORD_1
	v_mul_f16_sdwa v61, v47, v24 dst_sel:DWORD dst_unused:UNUSED_PAD src0_sel:DWORD src1_sel:WORD_1
	v_mul_f16_sdwa v62, v48, v5 dst_sel:DWORD dst_unused:UNUSED_PAD src0_sel:DWORD src1_sel:WORD_1
	v_mul_f16_sdwa v58, v51, v6 dst_sel:DWORD dst_unused:UNUSED_PAD src0_sel:DWORD src1_sel:WORD_1
	v_mul_f16_sdwa v60, v50, v7 dst_sel:DWORD dst_unused:UNUSED_PAD src0_sel:DWORD src1_sel:WORD_1
	v_sub_f16_e32 v63, v22, v64
	v_sub_f16_e32 v74, v23, v29
	;; [unrolled: 1-line block ×3, first 2 shown]
	v_add_f16_e32 v76, v94, v93
	v_add_f16_e32 v77, v96, v95
	;; [unrolled: 1-line block ×6, first 2 shown]
	v_sub_f16_e32 v59, v94, v93
	v_sub_f16_e32 v64, v96, v95
	;; [unrolled: 1-line block ×6, first 2 shown]
	v_add_f16_e32 v82, v106, v105
	v_add_f16_e32 v83, v108, v107
	;; [unrolled: 1-line block ×6, first 2 shown]
	v_sub_f16_e32 v3, v106, v105
	v_sub_f16_e32 v53, v108, v107
	;; [unrolled: 1-line block ×3, first 2 shown]
	v_fma_f16 v8, v49, v4, -v8
	v_fma_f16 v9, v52, v25, -v9
	;; [unrolled: 1-line block ×6, first 2 shown]
	v_fmac_f16_e32 v56, v73, v25
	v_fmac_f16_e32 v57, v69, v4
	;; [unrolled: 1-line block ×6, first 2 shown]
	v_sub_f16_e32 v4, v63, v74
	v_sub_f16_e32 v5, v74, v75
	v_add_f16_e32 v6, v74, v75
	v_sub_f16_e32 v7, v76, v77
	v_sub_f16_e32 v24, v77, v78
	v_add_f16_e32 v25, v76, v78
	;; [unrolled: 3-line block ×4, first 2 shown]
	v_sub_f16_e32 v64, v75, v63
	v_sub_f16_e32 v68, v78, v76
	;; [unrolled: 1-line block ×6, first 2 shown]
	v_add_f16_e32 v70, v80, v81
	v_sub_f16_e32 v71, v82, v83
	v_sub_f16_e32 v72, v83, v84
	v_add_f16_e32 v73, v82, v84
	v_sub_f16_e32 v74, v0, v1
	v_sub_f16_e32 v75, v1, v2
	;; [unrolled: 3-line block ×4, first 2 shown]
	v_sub_f16_e32 v2, v55, v3
	v_sub_f16_e32 v55, v8, v9
	;; [unrolled: 1-line block ×3, first 2 shown]
	v_add_f16_e32 v88, v57, v56
	v_add_f16_e32 v90, v62, v61
	;; [unrolled: 1-line block ×5, first 2 shown]
	v_sub_f16_e32 v81, v81, v79
	v_sub_f16_e32 v85, v26, v27
	v_add_f16_e32 v89, v60, v58
	v_sub_f16_e32 v11, v57, v56
	v_sub_f16_e32 v26, v60, v58
	;; [unrolled: 1-line block ×3, first 2 shown]
	v_mul_f16_e32 v5, 0xb846, v5
	v_add_f16_e32 v6, v63, v6
	v_mul_f16_e32 v56, 0x3a52, v7
	v_add_f16_e32 v25, v77, v25
	;; [unrolled: 2-line block ×4, first 2 shown]
	v_mul_f16_e32 v52, 0x3b00, v64
	v_mul_f16_e32 v62, 0x2b26, v72
	v_add_f16_e32 v63, v83, v73
	v_add_f16_e32 v1, v1, v76
	v_mul_f16_e32 v72, 0xb846, v80
	v_mul_f16_e32 v73, 0x3b00, v2
	v_add_f16_e32 v83, v88, v90
	v_add_f16_e32 v92, v8, v10
	v_mul_f16_e32 v24, 0x2b26, v24
	v_mul_f16_e32 v48, 0x2b26, v48
	;; [unrolled: 1-line block ×4, first 2 shown]
	v_add_f16_e32 v60, v79, v70
	v_mul_f16_e32 v61, 0x3a52, v71
	v_mul_f16_e32 v69, 0x3a52, v74
	;; [unrolled: 1-line block ×3, first 2 shown]
	v_add_f16_e32 v3, v3, v53
	v_mul_f16_e32 v53, 0x3b00, v81
	v_sub_f16_e32 v75, v55, v84
	v_sub_f16_e32 v76, v84, v85
	v_add_f16_e32 v77, v84, v85
	v_sub_f16_e32 v79, v88, v89
	v_sub_f16_e32 v80, v89, v90
	;; [unrolled: 1-line block ×6, first 2 shown]
	v_add_f16_e32 v26, v26, v27
	v_sub_f16_e32 v88, v90, v88
	v_sub_f16_e32 v8, v10, v8
	;; [unrolled: 1-line block ×3, first 2 shown]
	v_fmamk_f16 v27, v4, 0x3574, v5
	v_add_f16_e32 v67, v67, v25
	v_add_f16_e32 v46, v46, v23
	v_fmamk_f16 v90, v50, 0x3574, v49
	v_fma_f16 v4, v4, 0xb574, -v52
	v_fma_f16 v52, v68, 0xb9e0, -v56
	v_fma_f16 v56, v22, 0xb9e0, -v57
	v_fma_f16 v5, v64, 0x3b00, -v5
	v_fma_f16 v29, v29, 0x3b00, -v49
	v_fmamk_f16 v49, v71, 0x3a52, v62
	v_add_f16_e32 v57, v66, v63
	v_add_f16_e32 v41, v41, v1
	v_fmamk_f16 v64, v78, 0x3574, v72
	v_fma_f16 v66, v78, 0xb574, -v73
	v_fma_f16 v2, v2, 0x3b00, -v72
	v_add_f16_e32 v71, v89, v83
	v_add_f16_e32 v9, v9, v92
	v_sub_f16_e32 v85, v85, v55
	v_fmamk_f16 v7, v7, 0x3a52, v24
	v_fmamk_f16 v47, v47, 0x3a52, v48
	v_fma_f16 v50, v50, 0xb574, -v58
	v_fma_f16 v24, v68, 0x39e0, -v24
	;; [unrolled: 1-line block ×3, first 2 shown]
	v_fmamk_f16 v48, v65, 0x3574, v59
	v_fmamk_f16 v58, v74, 0x3a52, v70
	v_fma_f16 v53, v65, 0xb574, -v53
	v_fma_f16 v65, v0, 0xb9e0, -v69
	;; [unrolled: 1-line block ×4, first 2 shown]
	v_mul_f16_e32 v68, 0xb846, v76
	v_mul_f16_e32 v69, 0x3a52, v79
	v_mul_f16_e32 v70, 0x2b26, v80
	v_mul_f16_e32 v73, 0x2b26, v91
	v_mul_f16_e32 v74, 0xb846, v94
	v_mul_f16_e32 v76, 0x3b00, v10
	v_fmac_f16_e32 v27, 0x370e, v6
	v_fmamk_f16 v25, v25, 0xbcab, v67
	v_fmamk_f16 v23, v23, 0xbcab, v46
	v_fmac_f16_e32 v4, 0x370e, v6
	v_fmac_f16_e32 v5, 0x370e, v6
	v_fmamk_f16 v6, v63, 0xbcab, v57
	v_fmamk_f16 v1, v1, 0xbcab, v41
	v_fmac_f16_e32 v64, 0x370e, v3
	v_fmac_f16_e32 v66, 0x370e, v3
	v_fmac_f16_e32 v2, 0x370e, v3
	v_pack_b32_f16 v3, v41, v57
	v_add_f16_e32 v54, v54, v71
	v_add_f16_e32 v40, v40, v9
	v_fma_f16 v61, v82, 0xb9e0, -v61
	v_mul_f16_e32 v72, 0x3a52, v84
	v_add_f16_e32 v11, v11, v26
	v_mul_f16_e32 v26, 0x3b00, v85
	v_fma_f16 v62, v82, 0x39e0, -v62
	v_add_f16_e32 v55, v55, v77
	v_fmac_f16_e32 v90, 0x370e, v51
	v_fmac_f16_e32 v50, 0x370e, v51
	;; [unrolled: 1-line block ×6, first 2 shown]
	v_pack_b32_f16 v41, v46, v67
	v_fmamk_f16 v46, v75, 0x3574, v68
	v_fmamk_f16 v51, v79, 0x3a52, v70
	;; [unrolled: 1-line block ×4, first 2 shown]
	v_fma_f16 v63, v88, 0xb9e0, -v69
	v_fma_f16 v69, v93, 0xb574, -v76
	;; [unrolled: 1-line block ×3, first 2 shown]
	v_add_f16_e32 v7, v7, v25
	v_add_f16_e32 v47, v47, v23
	;; [unrolled: 1-line block ×10, first 2 shown]
	global_store_dword v[13:14], v3, off
	v_fmamk_f16 v1, v71, 0xbcab, v54
	v_fmamk_f16 v3, v9, 0xbcab, v40
	v_fma_f16 v26, v75, 0xb574, -v26
	v_fma_f16 v67, v8, 0xb9e0, -v72
	;; [unrolled: 1-line block ×4, first 2 shown]
	v_add_f16_e32 v49, v61, v6
	v_fma_f16 v70, v88, 0x39e0, -v70
	v_add_f16_e32 v6, v62, v6
	v_fmac_f16_e32 v46, 0x370e, v55
	v_fmac_f16_e32 v60, 0x370e, v11
	;; [unrolled: 1-line block ×4, first 2 shown]
	v_pack_b32_f16 v9, v40, v54
	v_add_f16_e32 v11, v27, v7
	v_sub_f16_e32 v40, v47, v90
	v_add_f16_e32 v62, v29, v22
	v_sub_f16_e32 v22, v22, v29
	v_sub_f16_e32 v7, v7, v27
	v_add_f16_e32 v27, v90, v47
	v_add_f16_e32 v29, v48, v23
	v_sub_f16_e32 v47, v25, v64
	v_sub_f16_e32 v23, v23, v48
	v_add_f16_e32 v25, v64, v25
	v_add_f16_e32 v48, v51, v1
	;; [unrolled: 1-line block ×3, first 2 shown]
	v_fmac_f16_e32 v26, 0x370e, v55
	v_fmac_f16_e32 v68, 0x370e, v55
	v_add_f16_e32 v54, v4, v52
	v_sub_f16_e32 v55, v56, v50
	v_sub_f16_e32 v61, v24, v5
	v_add_f16_e32 v5, v5, v24
	v_sub_f16_e32 v4, v52, v4
	v_add_f16_e32 v24, v50, v56
	v_add_f16_e32 v50, v53, v49
	v_sub_f16_e32 v52, v58, v66
	v_add_f16_e32 v65, v2, v0
	v_sub_f16_e32 v0, v0, v2
	v_sub_f16_e32 v2, v49, v53
	v_add_f16_e32 v49, v66, v58
	v_add_f16_e32 v53, v63, v1
	;; [unrolled: 1-line block ×4, first 2 shown]
	v_sub_f16_e32 v56, v6, v59
	v_add_f16_e32 v6, v59, v6
	v_add_f16_e32 v1, v70, v1
	v_pack_b32_f16 v8, v25, v23
	v_add_f16_e32 v25, v46, v48
	v_sub_f16_e32 v46, v48, v46
	v_add_f16_e32 v48, v60, v51
	global_store_dword v[13:14], v9, off offset:252
	v_pack_b32_f16 v2, v49, v2
	v_pack_b32_f16 v9, v52, v50
	;; [unrolled: 1-line block ×3, first 2 shown]
	v_add_f16_e32 v29, v26, v53
	v_add_f16_e32 v50, v10, v3
	v_sub_f16_e32 v3, v3, v10
	v_sub_f16_e32 v10, v53, v26
	v_add_f16_e32 v26, v69, v57
	v_pack_b32_f16 v0, v0, v6
	v_sub_f16_e32 v49, v1, v68
	v_add_f16_e32 v1, v68, v1
	v_pack_b32_f16 v6, v65, v56
	v_sub_f16_e32 v47, v57, v69
	v_pack_b32_f16 v7, v27, v7
	v_sub_f16_e32 v27, v51, v60
	global_store_dword v[13:14], v8, off offset:864
	global_store_dword v[13:14], v2, off offset:1728
	;; [unrolled: 1-line block ×6, first 2 shown]
	v_pack_b32_f16 v0, v48, v46
	v_pack_b32_f16 v2, v26, v10
	v_pack_b32_f16 v1, v3, v1
	v_pack_b32_f16 v3, v50, v49
	v_pack_b32_f16 v6, v47, v29
	v_pack_b32_f16 v8, v27, v25
	global_store_dword v[13:14], v0, off offset:1116
	global_store_dword v[13:14], v2, off offset:1980
	;; [unrolled: 1-line block ×8, first 2 shown]
	v_add_co_u32 v0, vcc_lo, 0x800, v15
	v_pack_b32_f16 v4, v24, v4
	v_add_co_ci_u32_e32 v1, vcc_lo, 0, v16, vcc_lo
	v_pack_b32_f16 v5, v22, v5
	v_add_co_u32 v2, vcc_lo, 0x1000, v15
	v_pack_b32_f16 v6, v62, v61
	v_pack_b32_f16 v7, v55, v54
	v_add_co_ci_u32_e32 v3, vcc_lo, 0, v16, vcc_lo
	v_pack_b32_f16 v8, v40, v11
	global_store_dword v[86:87], v4, off offset:1728
	global_store_dword v[0:1], v5, off offset:1048
	;; [unrolled: 1-line block ×5, first 2 shown]
	s_and_b32 exec_lo, exec_lo, s0
	s_cbranch_execz .LBB0_18
; %bb.17:
	v_subrev_nc_u32_e32 v0, 27, v12
	v_cndmask_b32_e64 v0, v0, v28, s0
	v_mul_i32_i24_e32 v16, 6, v0
	v_lshlrev_b64 v[0:1], 2, v[16:17]
	v_add_co_u32 v4, vcc_lo, s8, v0
	v_add_co_ci_u32_e32 v5, vcc_lo, s9, v1, vcc_lo
	s_clause 0x1
	global_load_dwordx4 v[0:3], v[4:5], off offset:856
	global_load_dwordx2 v[4:5], v[4:5], off offset:872
	s_waitcnt vmcnt(1)
	v_mul_f16_sdwa v6, v39, v0 dst_sel:DWORD dst_unused:UNUSED_PAD src0_sel:DWORD src1_sel:WORD_1
	v_mul_f16_sdwa v7, v33, v0 dst_sel:DWORD dst_unused:UNUSED_PAD src0_sel:DWORD src1_sel:WORD_1
	;; [unrolled: 1-line block ×8, first 2 shown]
	s_waitcnt vmcnt(0)
	v_mul_f16_sdwa v16, v43, v4 dst_sel:DWORD dst_unused:UNUSED_PAD src0_sel:DWORD src1_sel:WORD_1
	v_mul_f16_sdwa v17, v34, v4 dst_sel:DWORD dst_unused:UNUSED_PAD src0_sel:DWORD src1_sel:WORD_1
	;; [unrolled: 1-line block ×4, first 2 shown]
	v_fma_f16 v6, v33, v0, -v6
	v_fmac_f16_e32 v7, v39, v0
	v_fma_f16 v0, v30, v1, -v8
	v_fmac_f16_e32 v9, v31, v1
	v_fma_f16 v1, v37, v2, -v10
	v_fmac_f16_e32 v11, v45, v2
	v_fma_f16 v2, v35, v3, -v12
	v_fma_f16 v8, v36, v5, -v22
	v_fmac_f16_e32 v23, v44, v5
	v_fmac_f16_e32 v15, v42, v3
	v_fma_f16 v3, v34, v4, -v16
	v_fmac_f16_e32 v17, v43, v4
	v_add_f16_e32 v4, v6, v8
	v_add_f16_e32 v5, v7, v23
	v_sub_f16_e32 v6, v6, v8
	v_add_f16_e32 v8, v0, v3
	v_add_f16_e32 v10, v9, v17
	v_sub_f16_e32 v7, v7, v23
	v_sub_f16_e32 v0, v0, v3
	;; [unrolled: 1-line block ×3, first 2 shown]
	v_add_f16_e32 v9, v1, v2
	v_add_f16_e32 v12, v11, v15
	v_sub_f16_e32 v1, v2, v1
	v_sub_f16_e32 v2, v15, v11
	v_add_f16_e32 v11, v8, v4
	v_add_f16_e32 v15, v10, v5
	v_sub_f16_e32 v16, v8, v4
	v_sub_f16_e32 v17, v10, v5
	;; [unrolled: 1-line block ×6, first 2 shown]
	v_add_f16_e32 v22, v1, v0
	v_add_f16_e32 v23, v2, v3
	v_sub_f16_e32 v24, v1, v0
	v_sub_f16_e32 v25, v2, v3
	;; [unrolled: 1-line block ×4, first 2 shown]
	v_add_f16_e32 v9, v9, v11
	v_add_f16_e32 v11, v12, v15
	v_sub_f16_e32 v1, v6, v1
	v_sub_f16_e32 v2, v7, v2
	v_add_f16_e32 v6, v22, v6
	v_add_f16_e32 v7, v23, v7
	v_mul_f16_e32 v4, 0x3a52, v4
	v_mul_f16_e32 v5, 0x3a52, v5
	;; [unrolled: 1-line block ×8, first 2 shown]
	v_add_f16_e32 v26, v32, v9
	v_add_f16_e32 v27, v38, v11
	v_fmamk_f16 v8, v8, 0x2b26, v4
	v_fmamk_f16 v10, v10, 0x2b26, v5
	v_fma_f16 v12, v16, 0x39e0, -v12
	v_fma_f16 v15, v17, 0x39e0, -v15
	;; [unrolled: 1-line block ×4, first 2 shown]
	v_fmamk_f16 v16, v1, 0x3574, v22
	v_fmamk_f16 v17, v2, 0x3574, v23
	v_fma_f16 v0, v0, 0x3b00, -v22
	v_fma_f16 v3, v3, 0x3b00, -v23
	;; [unrolled: 1-line block ×4, first 2 shown]
	v_fmamk_f16 v9, v9, 0xbcab, v26
	v_fmamk_f16 v11, v11, 0xbcab, v27
	v_fmac_f16_e32 v16, 0x370e, v6
	v_fmac_f16_e32 v17, 0x370e, v7
	;; [unrolled: 1-line block ×6, first 2 shown]
	v_pack_b32_f16 v6, v26, v27
	v_add_f16_e32 v7, v8, v9
	v_add_f16_e32 v8, v10, v11
	;; [unrolled: 1-line block ×6, first 2 shown]
	global_store_dword v[13:14], v6, off offset:756
	v_add_f16_e32 v6, v17, v7
	v_sub_f16_e32 v9, v8, v16
	v_add_f16_e32 v11, v2, v4
	v_sub_f16_e32 v15, v5, v1
	v_sub_f16_e32 v22, v10, v3
	v_add_f16_e32 v23, v0, v12
	v_add_f16_e32 v3, v3, v10
	v_sub_f16_e32 v0, v12, v0
	v_sub_f16_e32 v2, v4, v2
	v_add_f16_e32 v1, v1, v5
	v_sub_f16_e32 v4, v7, v17
	v_add_f16_e32 v5, v16, v8
	v_pack_b32_f16 v6, v6, v9
	v_pack_b32_f16 v7, v11, v15
	v_pack_b32_f16 v8, v22, v23
	v_pack_b32_f16 v0, v3, v0
	v_pack_b32_f16 v1, v2, v1
	v_pack_b32_f16 v2, v4, v5
	global_store_dword v[13:14], v6, off offset:1620
	global_store_dword v[18:19], v7, off offset:436
	;; [unrolled: 1-line block ×6, first 2 shown]
.LBB0_18:
	s_endpgm
	.section	.rodata,"a",@progbits
	.p2align	6, 0x0
	.amdhsa_kernel fft_rtc_fwd_len1512_factors_2_2_2_3_3_3_7_wgs_63_tpt_63_halfLds_half_ip_CI_unitstride_sbrr_dirReg
		.amdhsa_group_segment_fixed_size 0
		.amdhsa_private_segment_fixed_size 0
		.amdhsa_kernarg_size 88
		.amdhsa_user_sgpr_count 6
		.amdhsa_user_sgpr_private_segment_buffer 1
		.amdhsa_user_sgpr_dispatch_ptr 0
		.amdhsa_user_sgpr_queue_ptr 0
		.amdhsa_user_sgpr_kernarg_segment_ptr 1
		.amdhsa_user_sgpr_dispatch_id 0
		.amdhsa_user_sgpr_flat_scratch_init 0
		.amdhsa_user_sgpr_private_segment_size 0
		.amdhsa_wavefront_size32 1
		.amdhsa_uses_dynamic_stack 0
		.amdhsa_system_sgpr_private_segment_wavefront_offset 0
		.amdhsa_system_sgpr_workgroup_id_x 1
		.amdhsa_system_sgpr_workgroup_id_y 0
		.amdhsa_system_sgpr_workgroup_id_z 0
		.amdhsa_system_sgpr_workgroup_info 0
		.amdhsa_system_vgpr_workitem_id 0
		.amdhsa_next_free_vgpr 111
		.amdhsa_next_free_sgpr 21
		.amdhsa_reserve_vcc 1
		.amdhsa_reserve_flat_scratch 0
		.amdhsa_float_round_mode_32 0
		.amdhsa_float_round_mode_16_64 0
		.amdhsa_float_denorm_mode_32 3
		.amdhsa_float_denorm_mode_16_64 3
		.amdhsa_dx10_clamp 1
		.amdhsa_ieee_mode 1
		.amdhsa_fp16_overflow 0
		.amdhsa_workgroup_processor_mode 1
		.amdhsa_memory_ordered 1
		.amdhsa_forward_progress 0
		.amdhsa_shared_vgpr_count 0
		.amdhsa_exception_fp_ieee_invalid_op 0
		.amdhsa_exception_fp_denorm_src 0
		.amdhsa_exception_fp_ieee_div_zero 0
		.amdhsa_exception_fp_ieee_overflow 0
		.amdhsa_exception_fp_ieee_underflow 0
		.amdhsa_exception_fp_ieee_inexact 0
		.amdhsa_exception_int_div_zero 0
	.end_amdhsa_kernel
	.text
.Lfunc_end0:
	.size	fft_rtc_fwd_len1512_factors_2_2_2_3_3_3_7_wgs_63_tpt_63_halfLds_half_ip_CI_unitstride_sbrr_dirReg, .Lfunc_end0-fft_rtc_fwd_len1512_factors_2_2_2_3_3_3_7_wgs_63_tpt_63_halfLds_half_ip_CI_unitstride_sbrr_dirReg
                                        ; -- End function
	.section	.AMDGPU.csdata,"",@progbits
; Kernel info:
; codeLenInByte = 17196
; NumSgprs: 23
; NumVgprs: 111
; ScratchSize: 0
; MemoryBound: 0
; FloatMode: 240
; IeeeMode: 1
; LDSByteSize: 0 bytes/workgroup (compile time only)
; SGPRBlocks: 2
; VGPRBlocks: 13
; NumSGPRsForWavesPerEU: 23
; NumVGPRsForWavesPerEU: 111
; Occupancy: 9
; WaveLimiterHint : 1
; COMPUTE_PGM_RSRC2:SCRATCH_EN: 0
; COMPUTE_PGM_RSRC2:USER_SGPR: 6
; COMPUTE_PGM_RSRC2:TRAP_HANDLER: 0
; COMPUTE_PGM_RSRC2:TGID_X_EN: 1
; COMPUTE_PGM_RSRC2:TGID_Y_EN: 0
; COMPUTE_PGM_RSRC2:TGID_Z_EN: 0
; COMPUTE_PGM_RSRC2:TIDIG_COMP_CNT: 0
	.text
	.p2alignl 6, 3214868480
	.fill 48, 4, 3214868480
	.type	__hip_cuid_babbcaee75806051,@object ; @__hip_cuid_babbcaee75806051
	.section	.bss,"aw",@nobits
	.globl	__hip_cuid_babbcaee75806051
__hip_cuid_babbcaee75806051:
	.byte	0                               ; 0x0
	.size	__hip_cuid_babbcaee75806051, 1

	.ident	"AMD clang version 19.0.0git (https://github.com/RadeonOpenCompute/llvm-project roc-6.4.0 25133 c7fe45cf4b819c5991fe208aaa96edf142730f1d)"
	.section	".note.GNU-stack","",@progbits
	.addrsig
	.addrsig_sym __hip_cuid_babbcaee75806051
	.amdgpu_metadata
---
amdhsa.kernels:
  - .args:
      - .actual_access:  read_only
        .address_space:  global
        .offset:         0
        .size:           8
        .value_kind:     global_buffer
      - .offset:         8
        .size:           8
        .value_kind:     by_value
      - .actual_access:  read_only
        .address_space:  global
        .offset:         16
        .size:           8
        .value_kind:     global_buffer
      - .actual_access:  read_only
        .address_space:  global
        .offset:         24
        .size:           8
        .value_kind:     global_buffer
      - .offset:         32
        .size:           8
        .value_kind:     by_value
      - .actual_access:  read_only
        .address_space:  global
        .offset:         40
        .size:           8
        .value_kind:     global_buffer
      - .actual_access:  read_only
        .address_space:  global
        .offset:         48
        .size:           8
        .value_kind:     global_buffer
      - .offset:         56
        .size:           4
        .value_kind:     by_value
      - .actual_access:  read_only
        .address_space:  global
        .offset:         64
        .size:           8
        .value_kind:     global_buffer
      - .actual_access:  read_only
        .address_space:  global
        .offset:         72
        .size:           8
        .value_kind:     global_buffer
      - .address_space:  global
        .offset:         80
        .size:           8
        .value_kind:     global_buffer
    .group_segment_fixed_size: 0
    .kernarg_segment_align: 8
    .kernarg_segment_size: 88
    .language:       OpenCL C
    .language_version:
      - 2
      - 0
    .max_flat_workgroup_size: 63
    .name:           fft_rtc_fwd_len1512_factors_2_2_2_3_3_3_7_wgs_63_tpt_63_halfLds_half_ip_CI_unitstride_sbrr_dirReg
    .private_segment_fixed_size: 0
    .sgpr_count:     23
    .sgpr_spill_count: 0
    .symbol:         fft_rtc_fwd_len1512_factors_2_2_2_3_3_3_7_wgs_63_tpt_63_halfLds_half_ip_CI_unitstride_sbrr_dirReg.kd
    .uniform_work_group_size: 1
    .uses_dynamic_stack: false
    .vgpr_count:     111
    .vgpr_spill_count: 0
    .wavefront_size: 32
    .workgroup_processor_mode: 1
amdhsa.target:   amdgcn-amd-amdhsa--gfx1030
amdhsa.version:
  - 1
  - 2
...

	.end_amdgpu_metadata
